;; amdgpu-corpus repo=ROCm/rocSPARSE kind=compiled arch=gfx1030 opt=O3
	.amdgcn_target "amdgcn-amd-amdhsa--gfx1030"
	.amdhsa_code_object_version 6
	.section	.text._ZN9rocsparseL18dotci_kernel_part1ILj256Ei21rocsparse_complex_numIfES2_S2_EEvT0_PKT1_PKS3_PKT2_PT3_21rocsparse_index_base_,"axG",@progbits,_ZN9rocsparseL18dotci_kernel_part1ILj256Ei21rocsparse_complex_numIfES2_S2_EEvT0_PKT1_PKS3_PKT2_PT3_21rocsparse_index_base_,comdat
	.globl	_ZN9rocsparseL18dotci_kernel_part1ILj256Ei21rocsparse_complex_numIfES2_S2_EEvT0_PKT1_PKS3_PKT2_PT3_21rocsparse_index_base_ ; -- Begin function _ZN9rocsparseL18dotci_kernel_part1ILj256Ei21rocsparse_complex_numIfES2_S2_EEvT0_PKT1_PKS3_PKT2_PT3_21rocsparse_index_base_
	.p2align	8
	.type	_ZN9rocsparseL18dotci_kernel_part1ILj256Ei21rocsparse_complex_numIfES2_S2_EEvT0_PKT1_PKS3_PKT2_PT3_21rocsparse_index_base_,@function
_ZN9rocsparseL18dotci_kernel_part1ILj256Ei21rocsparse_complex_numIfES2_S2_EEvT0_PKT1_PKS3_PKT2_PT3_21rocsparse_index_base_: ; @_ZN9rocsparseL18dotci_kernel_part1ILj256Ei21rocsparse_complex_numIfES2_S2_EEvT0_PKT1_PKS3_PKT2_PT3_21rocsparse_index_base_
; %bb.0:
	s_clause 0x1
	s_load_dword s0, s[4:5], 0x0
	s_load_dwordx8 s[8:15], s[4:5], 0x8
	v_mov_b32_e32 v1, 0
	v_lshl_or_b32 v3, s6, 8, v0
	s_mov_b32 s1, exec_lo
	v_mov_b32_e32 v2, v1
	s_waitcnt lgkmcnt(0)
	v_cmpx_gt_i32_e64 s0, v3
	s_cbranch_execz .LBB0_4
; %bb.1:
	s_clause 0x1
	s_load_dword s3, s[4:5], 0x30
	s_load_dword s2, s[4:5], 0x28
	v_mov_b32_e32 v1, 0
	v_mov_b32_e32 v2, v1
	s_waitcnt lgkmcnt(0)
	s_lshl_b32 s4, s3, 8
	s_mov_b32 s3, 0
	s_inst_prefetch 0x1
	.p2align	6
.LBB0_2:                                ; =>This Inner Loop Header: Depth=1
	v_ashrrev_i32_e32 v4, 31, v3
	v_lshlrev_b64 v[5:6], 2, v[3:4]
	v_lshlrev_b64 v[7:8], 3, v[3:4]
	v_add_nc_u32_e32 v3, s4, v3
	v_add_co_u32 v5, vcc_lo, s10, v5
	v_add_co_ci_u32_e64 v6, null, s11, v6, vcc_lo
	global_load_dword v5, v[5:6], off
	s_waitcnt vmcnt(0)
	v_subrev_nc_u32_e32 v5, s2, v5
	v_ashrrev_i32_e32 v6, 31, v5
	v_lshlrev_b64 v[4:5], 3, v[5:6]
	v_add_co_u32 v6, vcc_lo, s8, v7
	v_add_co_ci_u32_e64 v7, null, s9, v8, vcc_lo
	v_add_co_u32 v4, vcc_lo, s12, v4
	v_add_co_ci_u32_e64 v5, null, s13, v5, vcc_lo
	v_cmp_le_i32_e32 vcc_lo, s0, v3
	global_load_dwordx2 v[6:7], v[6:7], off
	global_load_dwordx2 v[4:5], v[4:5], off
	s_or_b32 s3, vcc_lo, s3
	s_waitcnt vmcnt(0)
	v_fmac_f32_e32 v1, v4, v6
	v_fmac_f32_e32 v2, v5, v6
	;; [unrolled: 1-line block ×3, first 2 shown]
	v_fma_f32 v2, v4, -v7, v2
	s_andn2_b32 exec_lo, exec_lo, s3
	s_cbranch_execnz .LBB0_2
; %bb.3:
	s_inst_prefetch 0x2
	s_or_b32 exec_lo, exec_lo, s3
.LBB0_4:
	s_or_b32 exec_lo, exec_lo, s1
	v_lshlrev_b32_e32 v3, 3, v0
	s_mov_b32 s0, exec_lo
	ds_write_b64 v3, v[1:2]
	s_waitcnt lgkmcnt(0)
	s_barrier
	buffer_gl0_inv
	v_cmpx_gt_u32_e32 0x80, v0
	s_cbranch_execz .LBB0_6
; %bb.5:
	ds_read2st64_b64 v[4:7], v3 offset1:2
	s_waitcnt lgkmcnt(0)
	v_add_f32_e32 v1, v6, v4
	v_add_f32_e32 v2, v7, v5
	ds_write_b64 v3, v[1:2]
.LBB0_6:
	s_or_b32 exec_lo, exec_lo, s0
	s_mov_b32 s0, exec_lo
	s_waitcnt lgkmcnt(0)
	s_barrier
	buffer_gl0_inv
	v_cmpx_gt_u32_e32 64, v0
	s_cbranch_execz .LBB0_8
; %bb.7:
	ds_read2st64_b64 v[4:7], v3 offset1:1
	s_waitcnt lgkmcnt(0)
	v_add_f32_e32 v1, v6, v4
	v_add_f32_e32 v2, v7, v5
	ds_write_b64 v3, v[1:2]
.LBB0_8:
	s_or_b32 exec_lo, exec_lo, s0
	s_mov_b32 s0, exec_lo
	s_waitcnt lgkmcnt(0)
	s_barrier
	buffer_gl0_inv
	v_cmpx_gt_u32_e32 32, v0
	s_cbranch_execz .LBB0_10
; %bb.9:
	ds_read2_b64 v[4:7], v3 offset1:32
	s_waitcnt lgkmcnt(0)
	v_add_f32_e32 v1, v6, v4
	v_add_f32_e32 v2, v7, v5
	ds_write_b64 v3, v[1:2]
.LBB0_10:
	s_or_b32 exec_lo, exec_lo, s0
	s_mov_b32 s0, exec_lo
	s_waitcnt lgkmcnt(0)
	s_barrier
	buffer_gl0_inv
	v_cmpx_gt_u32_e32 16, v0
	s_cbranch_execz .LBB0_12
; %bb.11:
	ds_read2_b64 v[4:7], v3 offset1:16
	s_waitcnt lgkmcnt(0)
	v_add_f32_e32 v1, v6, v4
	v_add_f32_e32 v2, v7, v5
	ds_write_b64 v3, v[1:2]
.LBB0_12:
	;; [unrolled: 14-line block ×5, first 2 shown]
	s_or_b32 exec_lo, exec_lo, s0
	v_cmp_eq_u32_e32 vcc_lo, 0, v0
	s_waitcnt lgkmcnt(0)
	s_barrier
	buffer_gl0_inv
	s_and_saveexec_b32 s0, vcc_lo
	s_cbranch_execz .LBB0_20
; %bb.19:
	v_mov_b32_e32 v4, 0
	ds_read2_b64 v[0:3], v4 offset1:1
	s_waitcnt lgkmcnt(0)
	v_add_f32_e32 v0, v2, v0
	v_add_f32_e32 v1, v3, v1
	ds_write_b64 v4, v[0:1]
.LBB0_20:
	s_or_b32 exec_lo, exec_lo, s0
	s_waitcnt lgkmcnt(0)
	s_barrier
	buffer_gl0_inv
	s_and_saveexec_b32 s0, vcc_lo
	s_cbranch_execz .LBB0_22
; %bb.21:
	v_mov_b32_e32 v2, 0
	s_mov_b32 s7, 0
	s_lshl_b64 s[0:1], s[6:7], 3
	s_add_u32 s0, s14, s0
	ds_read_b64 v[0:1], v2
	s_addc_u32 s1, s15, s1
	s_waitcnt lgkmcnt(0)
	global_store_dwordx2 v2, v[0:1], s[0:1]
.LBB0_22:
	s_endpgm
	.section	.rodata,"a",@progbits
	.p2align	6, 0x0
	.amdhsa_kernel _ZN9rocsparseL18dotci_kernel_part1ILj256Ei21rocsparse_complex_numIfES2_S2_EEvT0_PKT1_PKS3_PKT2_PT3_21rocsparse_index_base_
		.amdhsa_group_segment_fixed_size 2048
		.amdhsa_private_segment_fixed_size 0
		.amdhsa_kernarg_size 304
		.amdhsa_user_sgpr_count 6
		.amdhsa_user_sgpr_private_segment_buffer 1
		.amdhsa_user_sgpr_dispatch_ptr 0
		.amdhsa_user_sgpr_queue_ptr 0
		.amdhsa_user_sgpr_kernarg_segment_ptr 1
		.amdhsa_user_sgpr_dispatch_id 0
		.amdhsa_user_sgpr_flat_scratch_init 0
		.amdhsa_user_sgpr_private_segment_size 0
		.amdhsa_wavefront_size32 1
		.amdhsa_uses_dynamic_stack 0
		.amdhsa_system_sgpr_private_segment_wavefront_offset 0
		.amdhsa_system_sgpr_workgroup_id_x 1
		.amdhsa_system_sgpr_workgroup_id_y 0
		.amdhsa_system_sgpr_workgroup_id_z 0
		.amdhsa_system_sgpr_workgroup_info 0
		.amdhsa_system_vgpr_workitem_id 0
		.amdhsa_next_free_vgpr 9
		.amdhsa_next_free_sgpr 16
		.amdhsa_reserve_vcc 1
		.amdhsa_reserve_flat_scratch 0
		.amdhsa_float_round_mode_32 0
		.amdhsa_float_round_mode_16_64 0
		.amdhsa_float_denorm_mode_32 3
		.amdhsa_float_denorm_mode_16_64 3
		.amdhsa_dx10_clamp 1
		.amdhsa_ieee_mode 1
		.amdhsa_fp16_overflow 0
		.amdhsa_workgroup_processor_mode 1
		.amdhsa_memory_ordered 1
		.amdhsa_forward_progress 1
		.amdhsa_shared_vgpr_count 0
		.amdhsa_exception_fp_ieee_invalid_op 0
		.amdhsa_exception_fp_denorm_src 0
		.amdhsa_exception_fp_ieee_div_zero 0
		.amdhsa_exception_fp_ieee_overflow 0
		.amdhsa_exception_fp_ieee_underflow 0
		.amdhsa_exception_fp_ieee_inexact 0
		.amdhsa_exception_int_div_zero 0
	.end_amdhsa_kernel
	.section	.text._ZN9rocsparseL18dotci_kernel_part1ILj256Ei21rocsparse_complex_numIfES2_S2_EEvT0_PKT1_PKS3_PKT2_PT3_21rocsparse_index_base_,"axG",@progbits,_ZN9rocsparseL18dotci_kernel_part1ILj256Ei21rocsparse_complex_numIfES2_S2_EEvT0_PKT1_PKS3_PKT2_PT3_21rocsparse_index_base_,comdat
.Lfunc_end0:
	.size	_ZN9rocsparseL18dotci_kernel_part1ILj256Ei21rocsparse_complex_numIfES2_S2_EEvT0_PKT1_PKS3_PKT2_PT3_21rocsparse_index_base_, .Lfunc_end0-_ZN9rocsparseL18dotci_kernel_part1ILj256Ei21rocsparse_complex_numIfES2_S2_EEvT0_PKT1_PKS3_PKT2_PT3_21rocsparse_index_base_
                                        ; -- End function
	.set _ZN9rocsparseL18dotci_kernel_part1ILj256Ei21rocsparse_complex_numIfES2_S2_EEvT0_PKT1_PKS3_PKT2_PT3_21rocsparse_index_base_.num_vgpr, 9
	.set _ZN9rocsparseL18dotci_kernel_part1ILj256Ei21rocsparse_complex_numIfES2_S2_EEvT0_PKT1_PKS3_PKT2_PT3_21rocsparse_index_base_.num_agpr, 0
	.set _ZN9rocsparseL18dotci_kernel_part1ILj256Ei21rocsparse_complex_numIfES2_S2_EEvT0_PKT1_PKS3_PKT2_PT3_21rocsparse_index_base_.numbered_sgpr, 16
	.set _ZN9rocsparseL18dotci_kernel_part1ILj256Ei21rocsparse_complex_numIfES2_S2_EEvT0_PKT1_PKS3_PKT2_PT3_21rocsparse_index_base_.num_named_barrier, 0
	.set _ZN9rocsparseL18dotci_kernel_part1ILj256Ei21rocsparse_complex_numIfES2_S2_EEvT0_PKT1_PKS3_PKT2_PT3_21rocsparse_index_base_.private_seg_size, 0
	.set _ZN9rocsparseL18dotci_kernel_part1ILj256Ei21rocsparse_complex_numIfES2_S2_EEvT0_PKT1_PKS3_PKT2_PT3_21rocsparse_index_base_.uses_vcc, 1
	.set _ZN9rocsparseL18dotci_kernel_part1ILj256Ei21rocsparse_complex_numIfES2_S2_EEvT0_PKT1_PKS3_PKT2_PT3_21rocsparse_index_base_.uses_flat_scratch, 0
	.set _ZN9rocsparseL18dotci_kernel_part1ILj256Ei21rocsparse_complex_numIfES2_S2_EEvT0_PKT1_PKS3_PKT2_PT3_21rocsparse_index_base_.has_dyn_sized_stack, 0
	.set _ZN9rocsparseL18dotci_kernel_part1ILj256Ei21rocsparse_complex_numIfES2_S2_EEvT0_PKT1_PKS3_PKT2_PT3_21rocsparse_index_base_.has_recursion, 0
	.set _ZN9rocsparseL18dotci_kernel_part1ILj256Ei21rocsparse_complex_numIfES2_S2_EEvT0_PKT1_PKS3_PKT2_PT3_21rocsparse_index_base_.has_indirect_call, 0
	.section	.AMDGPU.csdata,"",@progbits
; Kernel info:
; codeLenInByte = 864
; TotalNumSgprs: 18
; NumVgprs: 9
; ScratchSize: 0
; MemoryBound: 0
; FloatMode: 240
; IeeeMode: 1
; LDSByteSize: 2048 bytes/workgroup (compile time only)
; SGPRBlocks: 0
; VGPRBlocks: 1
; NumSGPRsForWavesPerEU: 18
; NumVGPRsForWavesPerEU: 9
; Occupancy: 16
; WaveLimiterHint : 1
; COMPUTE_PGM_RSRC2:SCRATCH_EN: 0
; COMPUTE_PGM_RSRC2:USER_SGPR: 6
; COMPUTE_PGM_RSRC2:TRAP_HANDLER: 0
; COMPUTE_PGM_RSRC2:TGID_X_EN: 1
; COMPUTE_PGM_RSRC2:TGID_Y_EN: 0
; COMPUTE_PGM_RSRC2:TGID_Z_EN: 0
; COMPUTE_PGM_RSRC2:TIDIG_COMP_CNT: 0
	.section	.text._ZN9rocsparseL18dotci_kernel_part2ILj256E21rocsparse_complex_numIfEEEvPT0_S4_,"axG",@progbits,_ZN9rocsparseL18dotci_kernel_part2ILj256E21rocsparse_complex_numIfEEEvPT0_S4_,comdat
	.globl	_ZN9rocsparseL18dotci_kernel_part2ILj256E21rocsparse_complex_numIfEEEvPT0_S4_ ; -- Begin function _ZN9rocsparseL18dotci_kernel_part2ILj256E21rocsparse_complex_numIfEEEvPT0_S4_
	.p2align	8
	.type	_ZN9rocsparseL18dotci_kernel_part2ILj256E21rocsparse_complex_numIfEEEvPT0_S4_,@function
_ZN9rocsparseL18dotci_kernel_part2ILj256E21rocsparse_complex_numIfEEEvPT0_S4_: ; @_ZN9rocsparseL18dotci_kernel_part2ILj256E21rocsparse_complex_numIfEEEvPT0_S4_
; %bb.0:
	s_load_dwordx4 s[0:3], s[4:5], 0x0
	v_lshlrev_b32_e32 v1, 3, v0
	s_mov_b32 s4, exec_lo
	s_waitcnt lgkmcnt(0)
	global_load_dwordx2 v[2:3], v1, s[0:1]
	s_waitcnt vmcnt(0)
	ds_write_b64 v1, v[2:3]
	s_waitcnt lgkmcnt(0)
	s_barrier
	buffer_gl0_inv
	v_cmpx_gt_u32_e32 0x80, v0
	s_cbranch_execz .LBB1_2
; %bb.1:
	ds_read2st64_b64 v[2:5], v1 offset1:2
	s_waitcnt lgkmcnt(0)
	v_add_f32_e32 v2, v4, v2
	v_add_f32_e32 v3, v5, v3
	ds_write_b64 v1, v[2:3]
.LBB1_2:
	s_or_b32 exec_lo, exec_lo, s4
	s_mov_b32 s4, exec_lo
	s_waitcnt lgkmcnt(0)
	s_barrier
	buffer_gl0_inv
	v_cmpx_gt_u32_e32 64, v0
	s_cbranch_execz .LBB1_4
; %bb.3:
	ds_read2st64_b64 v[2:5], v1 offset1:1
	s_waitcnt lgkmcnt(0)
	v_add_f32_e32 v2, v4, v2
	v_add_f32_e32 v3, v5, v3
	ds_write_b64 v1, v[2:3]
.LBB1_4:
	s_or_b32 exec_lo, exec_lo, s4
	s_mov_b32 s4, exec_lo
	s_waitcnt lgkmcnt(0)
	s_barrier
	buffer_gl0_inv
	v_cmpx_gt_u32_e32 32, v0
	s_cbranch_execz .LBB1_6
; %bb.5:
	ds_read2_b64 v[2:5], v1 offset1:32
	s_waitcnt lgkmcnt(0)
	v_add_f32_e32 v2, v4, v2
	v_add_f32_e32 v3, v5, v3
	ds_write_b64 v1, v[2:3]
.LBB1_6:
	s_or_b32 exec_lo, exec_lo, s4
	s_mov_b32 s4, exec_lo
	s_waitcnt lgkmcnt(0)
	s_barrier
	buffer_gl0_inv
	v_cmpx_gt_u32_e32 16, v0
	s_cbranch_execz .LBB1_8
; %bb.7:
	ds_read2_b64 v[2:5], v1 offset1:16
	s_waitcnt lgkmcnt(0)
	v_add_f32_e32 v2, v4, v2
	v_add_f32_e32 v3, v5, v3
	ds_write_b64 v1, v[2:3]
.LBB1_8:
	;; [unrolled: 14-line block ×5, first 2 shown]
	s_or_b32 exec_lo, exec_lo, s4
	v_cmp_eq_u32_e32 vcc_lo, 0, v0
	s_waitcnt lgkmcnt(0)
	s_barrier
	buffer_gl0_inv
	s_and_saveexec_b32 s4, vcc_lo
	s_cbranch_execz .LBB1_16
; %bb.15:
	v_mov_b32_e32 v4, 0
	ds_read2_b64 v[0:3], v4 offset1:1
	s_waitcnt lgkmcnt(0)
	v_add_f32_e32 v0, v2, v0
	v_add_f32_e32 v1, v3, v1
	ds_write_b64 v4, v[0:1]
.LBB1_16:
	s_or_b32 exec_lo, exec_lo, s4
	s_waitcnt lgkmcnt(0)
	s_barrier
	buffer_gl0_inv
	s_and_saveexec_b32 s4, vcc_lo
	s_cbranch_execz .LBB1_18
; %bb.17:
	v_mov_b32_e32 v2, 0
	s_cmp_eq_u64 s[2:3], 0
	s_cselect_b32 s1, s1, s3
	s_cselect_b32 s0, s0, s2
	ds_read_b64 v[0:1], v2
	s_waitcnt lgkmcnt(0)
	global_store_dwordx2 v2, v[0:1], s[0:1]
.LBB1_18:
	s_endpgm
	.section	.rodata,"a",@progbits
	.p2align	6, 0x0
	.amdhsa_kernel _ZN9rocsparseL18dotci_kernel_part2ILj256E21rocsparse_complex_numIfEEEvPT0_S4_
		.amdhsa_group_segment_fixed_size 2048
		.amdhsa_private_segment_fixed_size 0
		.amdhsa_kernarg_size 16
		.amdhsa_user_sgpr_count 6
		.amdhsa_user_sgpr_private_segment_buffer 1
		.amdhsa_user_sgpr_dispatch_ptr 0
		.amdhsa_user_sgpr_queue_ptr 0
		.amdhsa_user_sgpr_kernarg_segment_ptr 1
		.amdhsa_user_sgpr_dispatch_id 0
		.amdhsa_user_sgpr_flat_scratch_init 0
		.amdhsa_user_sgpr_private_segment_size 0
		.amdhsa_wavefront_size32 1
		.amdhsa_uses_dynamic_stack 0
		.amdhsa_system_sgpr_private_segment_wavefront_offset 0
		.amdhsa_system_sgpr_workgroup_id_x 1
		.amdhsa_system_sgpr_workgroup_id_y 0
		.amdhsa_system_sgpr_workgroup_id_z 0
		.amdhsa_system_sgpr_workgroup_info 0
		.amdhsa_system_vgpr_workitem_id 0
		.amdhsa_next_free_vgpr 6
		.amdhsa_next_free_sgpr 6
		.amdhsa_reserve_vcc 1
		.amdhsa_reserve_flat_scratch 0
		.amdhsa_float_round_mode_32 0
		.amdhsa_float_round_mode_16_64 0
		.amdhsa_float_denorm_mode_32 3
		.amdhsa_float_denorm_mode_16_64 3
		.amdhsa_dx10_clamp 1
		.amdhsa_ieee_mode 1
		.amdhsa_fp16_overflow 0
		.amdhsa_workgroup_processor_mode 1
		.amdhsa_memory_ordered 1
		.amdhsa_forward_progress 1
		.amdhsa_shared_vgpr_count 0
		.amdhsa_exception_fp_ieee_invalid_op 0
		.amdhsa_exception_fp_denorm_src 0
		.amdhsa_exception_fp_ieee_div_zero 0
		.amdhsa_exception_fp_ieee_overflow 0
		.amdhsa_exception_fp_ieee_underflow 0
		.amdhsa_exception_fp_ieee_inexact 0
		.amdhsa_exception_int_div_zero 0
	.end_amdhsa_kernel
	.section	.text._ZN9rocsparseL18dotci_kernel_part2ILj256E21rocsparse_complex_numIfEEEvPT0_S4_,"axG",@progbits,_ZN9rocsparseL18dotci_kernel_part2ILj256E21rocsparse_complex_numIfEEEvPT0_S4_,comdat
.Lfunc_end1:
	.size	_ZN9rocsparseL18dotci_kernel_part2ILj256E21rocsparse_complex_numIfEEEvPT0_S4_, .Lfunc_end1-_ZN9rocsparseL18dotci_kernel_part2ILj256E21rocsparse_complex_numIfEEEvPT0_S4_
                                        ; -- End function
	.set _ZN9rocsparseL18dotci_kernel_part2ILj256E21rocsparse_complex_numIfEEEvPT0_S4_.num_vgpr, 6
	.set _ZN9rocsparseL18dotci_kernel_part2ILj256E21rocsparse_complex_numIfEEEvPT0_S4_.num_agpr, 0
	.set _ZN9rocsparseL18dotci_kernel_part2ILj256E21rocsparse_complex_numIfEEEvPT0_S4_.numbered_sgpr, 6
	.set _ZN9rocsparseL18dotci_kernel_part2ILj256E21rocsparse_complex_numIfEEEvPT0_S4_.num_named_barrier, 0
	.set _ZN9rocsparseL18dotci_kernel_part2ILj256E21rocsparse_complex_numIfEEEvPT0_S4_.private_seg_size, 0
	.set _ZN9rocsparseL18dotci_kernel_part2ILj256E21rocsparse_complex_numIfEEEvPT0_S4_.uses_vcc, 1
	.set _ZN9rocsparseL18dotci_kernel_part2ILj256E21rocsparse_complex_numIfEEEvPT0_S4_.uses_flat_scratch, 0
	.set _ZN9rocsparseL18dotci_kernel_part2ILj256E21rocsparse_complex_numIfEEEvPT0_S4_.has_dyn_sized_stack, 0
	.set _ZN9rocsparseL18dotci_kernel_part2ILj256E21rocsparse_complex_numIfEEEvPT0_S4_.has_recursion, 0
	.set _ZN9rocsparseL18dotci_kernel_part2ILj256E21rocsparse_complex_numIfEEEvPT0_S4_.has_indirect_call, 0
	.section	.AMDGPU.csdata,"",@progbits
; Kernel info:
; codeLenInByte = 588
; TotalNumSgprs: 8
; NumVgprs: 6
; ScratchSize: 0
; MemoryBound: 0
; FloatMode: 240
; IeeeMode: 1
; LDSByteSize: 2048 bytes/workgroup (compile time only)
; SGPRBlocks: 0
; VGPRBlocks: 0
; NumSGPRsForWavesPerEU: 8
; NumVGPRsForWavesPerEU: 6
; Occupancy: 16
; WaveLimiterHint : 0
; COMPUTE_PGM_RSRC2:SCRATCH_EN: 0
; COMPUTE_PGM_RSRC2:USER_SGPR: 6
; COMPUTE_PGM_RSRC2:TRAP_HANDLER: 0
; COMPUTE_PGM_RSRC2:TGID_X_EN: 1
; COMPUTE_PGM_RSRC2:TGID_Y_EN: 0
; COMPUTE_PGM_RSRC2:TGID_Z_EN: 0
; COMPUTE_PGM_RSRC2:TIDIG_COMP_CNT: 0
	.section	.text._ZN9rocsparseL18dotci_kernel_part1ILj256El21rocsparse_complex_numIfES2_S2_EEvT0_PKT1_PKS3_PKT2_PT3_21rocsparse_index_base_,"axG",@progbits,_ZN9rocsparseL18dotci_kernel_part1ILj256El21rocsparse_complex_numIfES2_S2_EEvT0_PKT1_PKS3_PKT2_PT3_21rocsparse_index_base_,comdat
	.globl	_ZN9rocsparseL18dotci_kernel_part1ILj256El21rocsparse_complex_numIfES2_S2_EEvT0_PKT1_PKS3_PKT2_PT3_21rocsparse_index_base_ ; -- Begin function _ZN9rocsparseL18dotci_kernel_part1ILj256El21rocsparse_complex_numIfES2_S2_EEvT0_PKT1_PKS3_PKT2_PT3_21rocsparse_index_base_
	.p2align	8
	.type	_ZN9rocsparseL18dotci_kernel_part1ILj256El21rocsparse_complex_numIfES2_S2_EEvT0_PKT1_PKS3_PKT2_PT3_21rocsparse_index_base_,@function
_ZN9rocsparseL18dotci_kernel_part1ILj256El21rocsparse_complex_numIfES2_S2_EEvT0_PKT1_PKS3_PKT2_PT3_21rocsparse_index_base_: ; @_ZN9rocsparseL18dotci_kernel_part1ILj256El21rocsparse_complex_numIfES2_S2_EEvT0_PKT1_PKS3_PKT2_PT3_21rocsparse_index_base_
; %bb.0:
	s_clause 0x1
	s_load_dwordx8 s[8:15], s[4:5], 0x0
	s_load_dwordx2 s[2:3], s[4:5], 0x20
	v_mov_b32_e32 v2, 0
	v_lshl_or_b32 v1, s6, 8, v0
	s_mov_b32 s1, exec_lo
	v_mov_b32_e32 v3, v2
	v_mov_b32_e32 v4, v2
	s_waitcnt lgkmcnt(0)
	v_cmpx_gt_i64_e64 s[8:9], v[1:2]
	s_cbranch_execz .LBB2_4
; %bb.1:
	s_clause 0x1
	s_load_dword s0, s[4:5], 0x30
	s_load_dword s7, s[4:5], 0x28
	v_mov_b32_e32 v3, 0
	v_lshlrev_b64 v[5:6], 3, v[1:2]
	s_mov_b32 s5, 0
	v_mov_b32_e32 v4, v3
	s_waitcnt lgkmcnt(0)
	s_lshl_b32 s4, s0, 8
	s_lshl_b64 s[16:17], s[4:5], 3
	s_inst_prefetch 0x1
	.p2align	6
.LBB2_2:                                ; =>This Inner Loop Header: Depth=1
	v_add_co_u32 v7, vcc_lo, s12, v5
	v_add_co_ci_u32_e64 v8, null, s13, v6, vcc_lo
	global_load_dwordx2 v[7:8], v[7:8], off
	s_waitcnt vmcnt(0)
	v_sub_co_u32 v7, vcc_lo, v7, s7
	v_subrev_co_ci_u32_e64 v8, null, 0, v8, vcc_lo
	v_add_co_u32 v9, vcc_lo, s10, v5
	v_add_co_ci_u32_e64 v10, null, s11, v6, vcc_lo
	v_lshlrev_b64 v[7:8], 3, v[7:8]
	v_add_co_u32 v7, vcc_lo, s14, v7
	v_add_co_ci_u32_e64 v8, null, s15, v8, vcc_lo
	v_add_co_u32 v1, vcc_lo, v1, s4
	global_load_dwordx2 v[9:10], v[9:10], off
	global_load_dwordx2 v[7:8], v[7:8], off
	v_add_co_ci_u32_e64 v2, null, 0, v2, vcc_lo
	v_add_co_u32 v5, vcc_lo, v5, s16
	v_add_co_ci_u32_e64 v6, null, s17, v6, vcc_lo
	v_cmp_le_i64_e64 s0, s[8:9], v[1:2]
	s_or_b32 s5, s0, s5
	s_waitcnt vmcnt(0)
	v_fmac_f32_e32 v3, v7, v9
	v_fmac_f32_e32 v4, v8, v9
	;; [unrolled: 1-line block ×3, first 2 shown]
	v_fma_f32 v4, v7, -v10, v4
	s_andn2_b32 exec_lo, exec_lo, s5
	s_cbranch_execnz .LBB2_2
; %bb.3:
	s_inst_prefetch 0x2
	s_or_b32 exec_lo, exec_lo, s5
.LBB2_4:
	s_or_b32 exec_lo, exec_lo, s1
	v_lshlrev_b32_e32 v1, 3, v0
	s_mov_b32 s0, exec_lo
	ds_write_b64 v1, v[3:4]
	s_waitcnt lgkmcnt(0)
	s_barrier
	buffer_gl0_inv
	v_cmpx_gt_u32_e32 0x80, v0
	s_cbranch_execz .LBB2_6
; %bb.5:
	ds_read2st64_b64 v[2:5], v1 offset1:2
	s_waitcnt lgkmcnt(0)
	v_add_f32_e32 v2, v4, v2
	v_add_f32_e32 v3, v5, v3
	ds_write_b64 v1, v[2:3]
.LBB2_6:
	s_or_b32 exec_lo, exec_lo, s0
	s_mov_b32 s0, exec_lo
	s_waitcnt lgkmcnt(0)
	s_barrier
	buffer_gl0_inv
	v_cmpx_gt_u32_e32 64, v0
	s_cbranch_execz .LBB2_8
; %bb.7:
	ds_read2st64_b64 v[2:5], v1 offset1:1
	s_waitcnt lgkmcnt(0)
	v_add_f32_e32 v2, v4, v2
	v_add_f32_e32 v3, v5, v3
	ds_write_b64 v1, v[2:3]
.LBB2_8:
	s_or_b32 exec_lo, exec_lo, s0
	s_mov_b32 s0, exec_lo
	s_waitcnt lgkmcnt(0)
	s_barrier
	buffer_gl0_inv
	v_cmpx_gt_u32_e32 32, v0
	s_cbranch_execz .LBB2_10
; %bb.9:
	ds_read2_b64 v[2:5], v1 offset1:32
	s_waitcnt lgkmcnt(0)
	v_add_f32_e32 v2, v4, v2
	v_add_f32_e32 v3, v5, v3
	ds_write_b64 v1, v[2:3]
.LBB2_10:
	s_or_b32 exec_lo, exec_lo, s0
	s_mov_b32 s0, exec_lo
	s_waitcnt lgkmcnt(0)
	s_barrier
	buffer_gl0_inv
	v_cmpx_gt_u32_e32 16, v0
	s_cbranch_execz .LBB2_12
; %bb.11:
	ds_read2_b64 v[2:5], v1 offset1:16
	s_waitcnt lgkmcnt(0)
	v_add_f32_e32 v2, v4, v2
	v_add_f32_e32 v3, v5, v3
	ds_write_b64 v1, v[2:3]
.LBB2_12:
	s_or_b32 exec_lo, exec_lo, s0
	s_mov_b32 s0, exec_lo
	s_waitcnt lgkmcnt(0)
	s_barrier
	buffer_gl0_inv
	v_cmpx_gt_u32_e32 8, v0
	s_cbranch_execz .LBB2_14
; %bb.13:
	ds_read2_b64 v[2:5], v1 offset1:8
	s_waitcnt lgkmcnt(0)
	v_add_f32_e32 v2, v4, v2
	v_add_f32_e32 v3, v5, v3
	ds_write_b64 v1, v[2:3]
.LBB2_14:
	s_or_b32 exec_lo, exec_lo, s0
	s_mov_b32 s0, exec_lo
	s_waitcnt lgkmcnt(0)
	s_barrier
	buffer_gl0_inv
	v_cmpx_gt_u32_e32 4, v0
	s_cbranch_execz .LBB2_16
; %bb.15:
	ds_read2_b64 v[2:5], v1 offset1:4
	s_waitcnt lgkmcnt(0)
	v_add_f32_e32 v2, v4, v2
	v_add_f32_e32 v3, v5, v3
	ds_write_b64 v1, v[2:3]
.LBB2_16:
	s_or_b32 exec_lo, exec_lo, s0
	s_mov_b32 s0, exec_lo
	s_waitcnt lgkmcnt(0)
	s_barrier
	buffer_gl0_inv
	v_cmpx_gt_u32_e32 2, v0
	s_cbranch_execz .LBB2_18
; %bb.17:
	ds_read2_b64 v[2:5], v1 offset1:2
	s_waitcnt lgkmcnt(0)
	v_add_f32_e32 v2, v4, v2
	v_add_f32_e32 v3, v5, v3
	ds_write_b64 v1, v[2:3]
.LBB2_18:
	s_or_b32 exec_lo, exec_lo, s0
	v_cmp_eq_u32_e32 vcc_lo, 0, v0
	s_waitcnt lgkmcnt(0)
	s_barrier
	buffer_gl0_inv
	s_and_saveexec_b32 s0, vcc_lo
	s_cbranch_execz .LBB2_20
; %bb.19:
	v_mov_b32_e32 v4, 0
	ds_read2_b64 v[0:3], v4 offset1:1
	s_waitcnt lgkmcnt(0)
	v_add_f32_e32 v0, v2, v0
	v_add_f32_e32 v1, v3, v1
	ds_write_b64 v4, v[0:1]
.LBB2_20:
	s_or_b32 exec_lo, exec_lo, s0
	s_waitcnt lgkmcnt(0)
	s_barrier
	buffer_gl0_inv
	s_and_saveexec_b32 s0, vcc_lo
	s_cbranch_execz .LBB2_22
; %bb.21:
	v_mov_b32_e32 v2, 0
	s_mov_b32 s7, 0
	s_lshl_b64 s[0:1], s[6:7], 3
	s_add_u32 s0, s2, s0
	ds_read_b64 v[0:1], v2
	s_addc_u32 s1, s3, s1
	s_waitcnt lgkmcnt(0)
	global_store_dwordx2 v2, v[0:1], s[0:1]
.LBB2_22:
	s_endpgm
	.section	.rodata,"a",@progbits
	.p2align	6, 0x0
	.amdhsa_kernel _ZN9rocsparseL18dotci_kernel_part1ILj256El21rocsparse_complex_numIfES2_S2_EEvT0_PKT1_PKS3_PKT2_PT3_21rocsparse_index_base_
		.amdhsa_group_segment_fixed_size 2048
		.amdhsa_private_segment_fixed_size 0
		.amdhsa_kernarg_size 304
		.amdhsa_user_sgpr_count 6
		.amdhsa_user_sgpr_private_segment_buffer 1
		.amdhsa_user_sgpr_dispatch_ptr 0
		.amdhsa_user_sgpr_queue_ptr 0
		.amdhsa_user_sgpr_kernarg_segment_ptr 1
		.amdhsa_user_sgpr_dispatch_id 0
		.amdhsa_user_sgpr_flat_scratch_init 0
		.amdhsa_user_sgpr_private_segment_size 0
		.amdhsa_wavefront_size32 1
		.amdhsa_uses_dynamic_stack 0
		.amdhsa_system_sgpr_private_segment_wavefront_offset 0
		.amdhsa_system_sgpr_workgroup_id_x 1
		.amdhsa_system_sgpr_workgroup_id_y 0
		.amdhsa_system_sgpr_workgroup_id_z 0
		.amdhsa_system_sgpr_workgroup_info 0
		.amdhsa_system_vgpr_workitem_id 0
		.amdhsa_next_free_vgpr 11
		.amdhsa_next_free_sgpr 18
		.amdhsa_reserve_vcc 1
		.amdhsa_reserve_flat_scratch 0
		.amdhsa_float_round_mode_32 0
		.amdhsa_float_round_mode_16_64 0
		.amdhsa_float_denorm_mode_32 3
		.amdhsa_float_denorm_mode_16_64 3
		.amdhsa_dx10_clamp 1
		.amdhsa_ieee_mode 1
		.amdhsa_fp16_overflow 0
		.amdhsa_workgroup_processor_mode 1
		.amdhsa_memory_ordered 1
		.amdhsa_forward_progress 1
		.amdhsa_shared_vgpr_count 0
		.amdhsa_exception_fp_ieee_invalid_op 0
		.amdhsa_exception_fp_denorm_src 0
		.amdhsa_exception_fp_ieee_div_zero 0
		.amdhsa_exception_fp_ieee_overflow 0
		.amdhsa_exception_fp_ieee_underflow 0
		.amdhsa_exception_fp_ieee_inexact 0
		.amdhsa_exception_int_div_zero 0
	.end_amdhsa_kernel
	.section	.text._ZN9rocsparseL18dotci_kernel_part1ILj256El21rocsparse_complex_numIfES2_S2_EEvT0_PKT1_PKS3_PKT2_PT3_21rocsparse_index_base_,"axG",@progbits,_ZN9rocsparseL18dotci_kernel_part1ILj256El21rocsparse_complex_numIfES2_S2_EEvT0_PKT1_PKS3_PKT2_PT3_21rocsparse_index_base_,comdat
.Lfunc_end2:
	.size	_ZN9rocsparseL18dotci_kernel_part1ILj256El21rocsparse_complex_numIfES2_S2_EEvT0_PKT1_PKS3_PKT2_PT3_21rocsparse_index_base_, .Lfunc_end2-_ZN9rocsparseL18dotci_kernel_part1ILj256El21rocsparse_complex_numIfES2_S2_EEvT0_PKT1_PKS3_PKT2_PT3_21rocsparse_index_base_
                                        ; -- End function
	.set _ZN9rocsparseL18dotci_kernel_part1ILj256El21rocsparse_complex_numIfES2_S2_EEvT0_PKT1_PKS3_PKT2_PT3_21rocsparse_index_base_.num_vgpr, 11
	.set _ZN9rocsparseL18dotci_kernel_part1ILj256El21rocsparse_complex_numIfES2_S2_EEvT0_PKT1_PKS3_PKT2_PT3_21rocsparse_index_base_.num_agpr, 0
	.set _ZN9rocsparseL18dotci_kernel_part1ILj256El21rocsparse_complex_numIfES2_S2_EEvT0_PKT1_PKS3_PKT2_PT3_21rocsparse_index_base_.numbered_sgpr, 18
	.set _ZN9rocsparseL18dotci_kernel_part1ILj256El21rocsparse_complex_numIfES2_S2_EEvT0_PKT1_PKS3_PKT2_PT3_21rocsparse_index_base_.num_named_barrier, 0
	.set _ZN9rocsparseL18dotci_kernel_part1ILj256El21rocsparse_complex_numIfES2_S2_EEvT0_PKT1_PKS3_PKT2_PT3_21rocsparse_index_base_.private_seg_size, 0
	.set _ZN9rocsparseL18dotci_kernel_part1ILj256El21rocsparse_complex_numIfES2_S2_EEvT0_PKT1_PKS3_PKT2_PT3_21rocsparse_index_base_.uses_vcc, 1
	.set _ZN9rocsparseL18dotci_kernel_part1ILj256El21rocsparse_complex_numIfES2_S2_EEvT0_PKT1_PKS3_PKT2_PT3_21rocsparse_index_base_.uses_flat_scratch, 0
	.set _ZN9rocsparseL18dotci_kernel_part1ILj256El21rocsparse_complex_numIfES2_S2_EEvT0_PKT1_PKS3_PKT2_PT3_21rocsparse_index_base_.has_dyn_sized_stack, 0
	.set _ZN9rocsparseL18dotci_kernel_part1ILj256El21rocsparse_complex_numIfES2_S2_EEvT0_PKT1_PKS3_PKT2_PT3_21rocsparse_index_base_.has_recursion, 0
	.set _ZN9rocsparseL18dotci_kernel_part1ILj256El21rocsparse_complex_numIfES2_S2_EEvT0_PKT1_PKS3_PKT2_PT3_21rocsparse_index_base_.has_indirect_call, 0
	.section	.AMDGPU.csdata,"",@progbits
; Kernel info:
; codeLenInByte = 884
; TotalNumSgprs: 20
; NumVgprs: 11
; ScratchSize: 0
; MemoryBound: 0
; FloatMode: 240
; IeeeMode: 1
; LDSByteSize: 2048 bytes/workgroup (compile time only)
; SGPRBlocks: 0
; VGPRBlocks: 1
; NumSGPRsForWavesPerEU: 20
; NumVGPRsForWavesPerEU: 11
; Occupancy: 16
; WaveLimiterHint : 1
; COMPUTE_PGM_RSRC2:SCRATCH_EN: 0
; COMPUTE_PGM_RSRC2:USER_SGPR: 6
; COMPUTE_PGM_RSRC2:TRAP_HANDLER: 0
; COMPUTE_PGM_RSRC2:TGID_X_EN: 1
; COMPUTE_PGM_RSRC2:TGID_Y_EN: 0
; COMPUTE_PGM_RSRC2:TGID_Z_EN: 0
; COMPUTE_PGM_RSRC2:TIDIG_COMP_CNT: 0
	.section	.text._ZN9rocsparseL18dotci_kernel_part1ILj256Ei21rocsparse_complex_numIdES2_S2_EEvT0_PKT1_PKS3_PKT2_PT3_21rocsparse_index_base_,"axG",@progbits,_ZN9rocsparseL18dotci_kernel_part1ILj256Ei21rocsparse_complex_numIdES2_S2_EEvT0_PKT1_PKS3_PKT2_PT3_21rocsparse_index_base_,comdat
	.globl	_ZN9rocsparseL18dotci_kernel_part1ILj256Ei21rocsparse_complex_numIdES2_S2_EEvT0_PKT1_PKS3_PKT2_PT3_21rocsparse_index_base_ ; -- Begin function _ZN9rocsparseL18dotci_kernel_part1ILj256Ei21rocsparse_complex_numIdES2_S2_EEvT0_PKT1_PKS3_PKT2_PT3_21rocsparse_index_base_
	.p2align	8
	.type	_ZN9rocsparseL18dotci_kernel_part1ILj256Ei21rocsparse_complex_numIdES2_S2_EEvT0_PKT1_PKS3_PKT2_PT3_21rocsparse_index_base_,@function
_ZN9rocsparseL18dotci_kernel_part1ILj256Ei21rocsparse_complex_numIdES2_S2_EEvT0_PKT1_PKS3_PKT2_PT3_21rocsparse_index_base_: ; @_ZN9rocsparseL18dotci_kernel_part1ILj256Ei21rocsparse_complex_numIdES2_S2_EEvT0_PKT1_PKS3_PKT2_PT3_21rocsparse_index_base_
; %bb.0:
	s_clause 0x1
	s_load_dword s0, s[4:5], 0x0
	s_load_dwordx8 s[8:15], s[4:5], 0x8
	v_mov_b32_e32 v1, 0
	v_mov_b32_e32 v2, 0
	v_lshl_or_b32 v5, s6, 8, v0
	s_mov_b32 s1, exec_lo
	v_mov_b32_e32 v4, v2
	v_mov_b32_e32 v3, v1
	s_waitcnt lgkmcnt(0)
	v_cmpx_gt_i32_e64 s0, v5
	s_cbranch_execz .LBB3_4
; %bb.1:
	s_clause 0x1
	s_load_dword s3, s[4:5], 0x30
	s_load_dword s2, s[4:5], 0x28
	v_mov_b32_e32 v1, 0
	v_mov_b32_e32 v2, 0
	;; [unrolled: 1-line block ×4, first 2 shown]
	s_waitcnt lgkmcnt(0)
	s_lshl_b32 s4, s3, 8
	s_mov_b32 s3, 0
	s_inst_prefetch 0x1
	.p2align	6
.LBB3_2:                                ; =>This Inner Loop Header: Depth=1
	v_ashrrev_i32_e32 v6, 31, v5
	v_lshlrev_b64 v[7:8], 2, v[5:6]
	v_lshlrev_b64 v[9:10], 4, v[5:6]
	v_add_nc_u32_e32 v5, s4, v5
	v_add_co_u32 v7, vcc_lo, s10, v7
	v_add_co_ci_u32_e64 v8, null, s11, v8, vcc_lo
	v_add_co_u32 v6, vcc_lo, s8, v9
	global_load_dword v7, v[7:8], off
	s_waitcnt vmcnt(0)
	v_subrev_nc_u32_e32 v7, s2, v7
	v_ashrrev_i32_e32 v8, 31, v7
	v_lshlrev_b64 v[8:9], 4, v[7:8]
	v_add_co_ci_u32_e64 v7, null, s9, v10, vcc_lo
	v_add_co_u32 v10, vcc_lo, s12, v8
	v_add_co_ci_u32_e64 v11, null, s13, v9, vcc_lo
	v_cmp_le_i32_e32 vcc_lo, s0, v5
	global_load_dwordx4 v[6:9], v[6:7], off
	global_load_dwordx4 v[10:13], v[10:11], off
	s_or_b32 s3, vcc_lo, s3
	s_waitcnt vmcnt(0)
	v_fma_f64 v[1:2], v[10:11], v[6:7], v[1:2]
	v_fma_f64 v[3:4], v[12:13], v[6:7], v[3:4]
	;; [unrolled: 1-line block ×3, first 2 shown]
	v_fma_f64 v[3:4], v[10:11], -v[8:9], v[3:4]
	s_andn2_b32 exec_lo, exec_lo, s3
	s_cbranch_execnz .LBB3_2
; %bb.3:
	s_inst_prefetch 0x2
	s_or_b32 exec_lo, exec_lo, s3
.LBB3_4:
	s_or_b32 exec_lo, exec_lo, s1
	v_lshlrev_b32_e32 v5, 4, v0
	s_mov_b32 s0, exec_lo
	ds_write_b128 v5, v[1:4]
	s_waitcnt lgkmcnt(0)
	s_barrier
	buffer_gl0_inv
	v_cmpx_gt_u32_e32 0x80, v0
	s_cbranch_execz .LBB3_6
; %bb.5:
	ds_read_b128 v[1:4], v5 offset:2048
	ds_read_b128 v[6:9], v5
	s_waitcnt lgkmcnt(0)
	v_add_f64 v[1:2], v[1:2], v[6:7]
	v_add_f64 v[3:4], v[3:4], v[8:9]
	ds_write_b128 v5, v[1:4]
.LBB3_6:
	s_or_b32 exec_lo, exec_lo, s0
	s_mov_b32 s0, exec_lo
	s_waitcnt lgkmcnt(0)
	s_barrier
	buffer_gl0_inv
	v_cmpx_gt_u32_e32 64, v0
	s_cbranch_execz .LBB3_8
; %bb.7:
	ds_read_b128 v[1:4], v5 offset:1024
	ds_read_b128 v[6:9], v5
	s_waitcnt lgkmcnt(0)
	v_add_f64 v[1:2], v[1:2], v[6:7]
	v_add_f64 v[3:4], v[3:4], v[8:9]
	ds_write_b128 v5, v[1:4]
.LBB3_8:
	s_or_b32 exec_lo, exec_lo, s0
	s_mov_b32 s0, exec_lo
	;; [unrolled: 15-line block ×6, first 2 shown]
	s_waitcnt lgkmcnt(0)
	s_barrier
	buffer_gl0_inv
	v_cmpx_gt_u32_e32 2, v0
	s_cbranch_execz .LBB3_18
; %bb.17:
	ds_read_b128 v[1:4], v5
	ds_read_b128 v[6:9], v5 offset:32
	s_waitcnt lgkmcnt(0)
	v_add_f64 v[1:2], v[6:7], v[1:2]
	v_add_f64 v[3:4], v[8:9], v[3:4]
	ds_write_b128 v5, v[1:4]
.LBB3_18:
	s_or_b32 exec_lo, exec_lo, s0
	v_cmp_eq_u32_e32 vcc_lo, 0, v0
	s_waitcnt lgkmcnt(0)
	s_barrier
	buffer_gl0_inv
	s_and_saveexec_b32 s0, vcc_lo
	s_cbranch_execz .LBB3_20
; %bb.19:
	v_mov_b32_e32 v8, 0
	ds_read_b128 v[0:3], v8
	ds_read_b128 v[4:7], v8 offset:16
	s_waitcnt lgkmcnt(0)
	v_add_f64 v[0:1], v[4:5], v[0:1]
	v_add_f64 v[2:3], v[6:7], v[2:3]
	ds_write_b128 v8, v[0:3]
.LBB3_20:
	s_or_b32 exec_lo, exec_lo, s0
	s_waitcnt lgkmcnt(0)
	s_barrier
	buffer_gl0_inv
	s_and_saveexec_b32 s0, vcc_lo
	s_cbranch_execz .LBB3_22
; %bb.21:
	v_mov_b32_e32 v4, 0
	s_mov_b32 s7, 0
	s_lshl_b64 s[0:1], s[6:7], 4
	s_add_u32 s0, s14, s0
	ds_read_b128 v[0:3], v4
	s_addc_u32 s1, s15, s1
	s_waitcnt lgkmcnt(0)
	global_store_dwordx4 v4, v[0:3], s[0:1]
.LBB3_22:
	s_endpgm
	.section	.rodata,"a",@progbits
	.p2align	6, 0x0
	.amdhsa_kernel _ZN9rocsparseL18dotci_kernel_part1ILj256Ei21rocsparse_complex_numIdES2_S2_EEvT0_PKT1_PKS3_PKT2_PT3_21rocsparse_index_base_
		.amdhsa_group_segment_fixed_size 4096
		.amdhsa_private_segment_fixed_size 0
		.amdhsa_kernarg_size 304
		.amdhsa_user_sgpr_count 6
		.amdhsa_user_sgpr_private_segment_buffer 1
		.amdhsa_user_sgpr_dispatch_ptr 0
		.amdhsa_user_sgpr_queue_ptr 0
		.amdhsa_user_sgpr_kernarg_segment_ptr 1
		.amdhsa_user_sgpr_dispatch_id 0
		.amdhsa_user_sgpr_flat_scratch_init 0
		.amdhsa_user_sgpr_private_segment_size 0
		.amdhsa_wavefront_size32 1
		.amdhsa_uses_dynamic_stack 0
		.amdhsa_system_sgpr_private_segment_wavefront_offset 0
		.amdhsa_system_sgpr_workgroup_id_x 1
		.amdhsa_system_sgpr_workgroup_id_y 0
		.amdhsa_system_sgpr_workgroup_id_z 0
		.amdhsa_system_sgpr_workgroup_info 0
		.amdhsa_system_vgpr_workitem_id 0
		.amdhsa_next_free_vgpr 14
		.amdhsa_next_free_sgpr 16
		.amdhsa_reserve_vcc 1
		.amdhsa_reserve_flat_scratch 0
		.amdhsa_float_round_mode_32 0
		.amdhsa_float_round_mode_16_64 0
		.amdhsa_float_denorm_mode_32 3
		.amdhsa_float_denorm_mode_16_64 3
		.amdhsa_dx10_clamp 1
		.amdhsa_ieee_mode 1
		.amdhsa_fp16_overflow 0
		.amdhsa_workgroup_processor_mode 1
		.amdhsa_memory_ordered 1
		.amdhsa_forward_progress 1
		.amdhsa_shared_vgpr_count 0
		.amdhsa_exception_fp_ieee_invalid_op 0
		.amdhsa_exception_fp_denorm_src 0
		.amdhsa_exception_fp_ieee_div_zero 0
		.amdhsa_exception_fp_ieee_overflow 0
		.amdhsa_exception_fp_ieee_underflow 0
		.amdhsa_exception_fp_ieee_inexact 0
		.amdhsa_exception_int_div_zero 0
	.end_amdhsa_kernel
	.section	.text._ZN9rocsparseL18dotci_kernel_part1ILj256Ei21rocsparse_complex_numIdES2_S2_EEvT0_PKT1_PKS3_PKT2_PT3_21rocsparse_index_base_,"axG",@progbits,_ZN9rocsparseL18dotci_kernel_part1ILj256Ei21rocsparse_complex_numIdES2_S2_EEvT0_PKT1_PKS3_PKT2_PT3_21rocsparse_index_base_,comdat
.Lfunc_end3:
	.size	_ZN9rocsparseL18dotci_kernel_part1ILj256Ei21rocsparse_complex_numIdES2_S2_EEvT0_PKT1_PKS3_PKT2_PT3_21rocsparse_index_base_, .Lfunc_end3-_ZN9rocsparseL18dotci_kernel_part1ILj256Ei21rocsparse_complex_numIdES2_S2_EEvT0_PKT1_PKS3_PKT2_PT3_21rocsparse_index_base_
                                        ; -- End function
	.set _ZN9rocsparseL18dotci_kernel_part1ILj256Ei21rocsparse_complex_numIdES2_S2_EEvT0_PKT1_PKS3_PKT2_PT3_21rocsparse_index_base_.num_vgpr, 14
	.set _ZN9rocsparseL18dotci_kernel_part1ILj256Ei21rocsparse_complex_numIdES2_S2_EEvT0_PKT1_PKS3_PKT2_PT3_21rocsparse_index_base_.num_agpr, 0
	.set _ZN9rocsparseL18dotci_kernel_part1ILj256Ei21rocsparse_complex_numIdES2_S2_EEvT0_PKT1_PKS3_PKT2_PT3_21rocsparse_index_base_.numbered_sgpr, 16
	.set _ZN9rocsparseL18dotci_kernel_part1ILj256Ei21rocsparse_complex_numIdES2_S2_EEvT0_PKT1_PKS3_PKT2_PT3_21rocsparse_index_base_.num_named_barrier, 0
	.set _ZN9rocsparseL18dotci_kernel_part1ILj256Ei21rocsparse_complex_numIdES2_S2_EEvT0_PKT1_PKS3_PKT2_PT3_21rocsparse_index_base_.private_seg_size, 0
	.set _ZN9rocsparseL18dotci_kernel_part1ILj256Ei21rocsparse_complex_numIdES2_S2_EEvT0_PKT1_PKS3_PKT2_PT3_21rocsparse_index_base_.uses_vcc, 1
	.set _ZN9rocsparseL18dotci_kernel_part1ILj256Ei21rocsparse_complex_numIdES2_S2_EEvT0_PKT1_PKS3_PKT2_PT3_21rocsparse_index_base_.uses_flat_scratch, 0
	.set _ZN9rocsparseL18dotci_kernel_part1ILj256Ei21rocsparse_complex_numIdES2_S2_EEvT0_PKT1_PKS3_PKT2_PT3_21rocsparse_index_base_.has_dyn_sized_stack, 0
	.set _ZN9rocsparseL18dotci_kernel_part1ILj256Ei21rocsparse_complex_numIdES2_S2_EEvT0_PKT1_PKS3_PKT2_PT3_21rocsparse_index_base_.has_recursion, 0
	.set _ZN9rocsparseL18dotci_kernel_part1ILj256Ei21rocsparse_complex_numIdES2_S2_EEvT0_PKT1_PKS3_PKT2_PT3_21rocsparse_index_base_.has_indirect_call, 0
	.section	.AMDGPU.csdata,"",@progbits
; Kernel info:
; codeLenInByte = 1004
; TotalNumSgprs: 18
; NumVgprs: 14
; ScratchSize: 0
; MemoryBound: 0
; FloatMode: 240
; IeeeMode: 1
; LDSByteSize: 4096 bytes/workgroup (compile time only)
; SGPRBlocks: 0
; VGPRBlocks: 1
; NumSGPRsForWavesPerEU: 18
; NumVGPRsForWavesPerEU: 14
; Occupancy: 16
; WaveLimiterHint : 1
; COMPUTE_PGM_RSRC2:SCRATCH_EN: 0
; COMPUTE_PGM_RSRC2:USER_SGPR: 6
; COMPUTE_PGM_RSRC2:TRAP_HANDLER: 0
; COMPUTE_PGM_RSRC2:TGID_X_EN: 1
; COMPUTE_PGM_RSRC2:TGID_Y_EN: 0
; COMPUTE_PGM_RSRC2:TGID_Z_EN: 0
; COMPUTE_PGM_RSRC2:TIDIG_COMP_CNT: 0
	.section	.text._ZN9rocsparseL18dotci_kernel_part2ILj256E21rocsparse_complex_numIdEEEvPT0_S4_,"axG",@progbits,_ZN9rocsparseL18dotci_kernel_part2ILj256E21rocsparse_complex_numIdEEEvPT0_S4_,comdat
	.globl	_ZN9rocsparseL18dotci_kernel_part2ILj256E21rocsparse_complex_numIdEEEvPT0_S4_ ; -- Begin function _ZN9rocsparseL18dotci_kernel_part2ILj256E21rocsparse_complex_numIdEEEvPT0_S4_
	.p2align	8
	.type	_ZN9rocsparseL18dotci_kernel_part2ILj256E21rocsparse_complex_numIdEEEvPT0_S4_,@function
_ZN9rocsparseL18dotci_kernel_part2ILj256E21rocsparse_complex_numIdEEEvPT0_S4_: ; @_ZN9rocsparseL18dotci_kernel_part2ILj256E21rocsparse_complex_numIdEEEvPT0_S4_
; %bb.0:
	s_load_dwordx4 s[0:3], s[4:5], 0x0
	v_lshlrev_b32_e32 v1, 4, v0
	s_mov_b32 s4, exec_lo
	s_waitcnt lgkmcnt(0)
	global_load_dwordx4 v[2:5], v1, s[0:1]
	s_waitcnt vmcnt(0)
	ds_write2_b64 v1, v[2:3], v[4:5] offset1:1
	s_waitcnt lgkmcnt(0)
	s_barrier
	buffer_gl0_inv
	v_cmpx_gt_u32_e32 0x80, v0
	s_cbranch_execz .LBB4_2
; %bb.1:
	ds_read_b128 v[2:5], v1 offset:2048
	ds_read_b128 v[6:9], v1
	s_waitcnt lgkmcnt(0)
	v_add_f64 v[2:3], v[2:3], v[6:7]
	v_add_f64 v[4:5], v[4:5], v[8:9]
	ds_write_b128 v1, v[2:5]
.LBB4_2:
	s_or_b32 exec_lo, exec_lo, s4
	s_mov_b32 s4, exec_lo
	s_waitcnt lgkmcnt(0)
	s_barrier
	buffer_gl0_inv
	v_cmpx_gt_u32_e32 64, v0
	s_cbranch_execz .LBB4_4
; %bb.3:
	ds_read_b128 v[2:5], v1 offset:1024
	ds_read_b128 v[6:9], v1
	s_waitcnt lgkmcnt(0)
	v_add_f64 v[2:3], v[2:3], v[6:7]
	v_add_f64 v[4:5], v[4:5], v[8:9]
	ds_write_b128 v1, v[2:5]
.LBB4_4:
	s_or_b32 exec_lo, exec_lo, s4
	s_mov_b32 s4, exec_lo
	s_waitcnt lgkmcnt(0)
	s_barrier
	buffer_gl0_inv
	v_cmpx_gt_u32_e32 32, v0
	s_cbranch_execz .LBB4_6
; %bb.5:
	ds_read_b128 v[2:5], v1 offset:512
	ds_read_b128 v[6:9], v1
	s_waitcnt lgkmcnt(0)
	v_add_f64 v[2:3], v[2:3], v[6:7]
	v_add_f64 v[4:5], v[4:5], v[8:9]
	ds_write_b128 v1, v[2:5]
.LBB4_6:
	s_or_b32 exec_lo, exec_lo, s4
	s_mov_b32 s4, exec_lo
	s_waitcnt lgkmcnt(0)
	s_barrier
	buffer_gl0_inv
	v_cmpx_gt_u32_e32 16, v0
	s_cbranch_execz .LBB4_8
; %bb.7:
	ds_read_b128 v[2:5], v1 offset:256
	ds_read_b128 v[6:9], v1
	s_waitcnt lgkmcnt(0)
	v_add_f64 v[2:3], v[2:3], v[6:7]
	v_add_f64 v[4:5], v[4:5], v[8:9]
	ds_write_b128 v1, v[2:5]
.LBB4_8:
	s_or_b32 exec_lo, exec_lo, s4
	s_mov_b32 s4, exec_lo
	s_waitcnt lgkmcnt(0)
	s_barrier
	buffer_gl0_inv
	v_cmpx_gt_u32_e32 8, v0
	s_cbranch_execz .LBB4_10
; %bb.9:
	ds_read_b128 v[2:5], v1 offset:128
	ds_read_b128 v[6:9], v1
	s_waitcnt lgkmcnt(0)
	v_add_f64 v[2:3], v[2:3], v[6:7]
	v_add_f64 v[4:5], v[4:5], v[8:9]
	ds_write_b128 v1, v[2:5]
.LBB4_10:
	s_or_b32 exec_lo, exec_lo, s4
	s_mov_b32 s4, exec_lo
	s_waitcnt lgkmcnt(0)
	s_barrier
	buffer_gl0_inv
	v_cmpx_gt_u32_e32 4, v0
	s_cbranch_execz .LBB4_12
; %bb.11:
	ds_read_b128 v[2:5], v1 offset:64
	ds_read_b128 v[6:9], v1
	s_waitcnt lgkmcnt(0)
	v_add_f64 v[2:3], v[2:3], v[6:7]
	v_add_f64 v[4:5], v[4:5], v[8:9]
	ds_write_b128 v1, v[2:5]
.LBB4_12:
	s_or_b32 exec_lo, exec_lo, s4
	s_mov_b32 s4, exec_lo
	s_waitcnt lgkmcnt(0)
	s_barrier
	buffer_gl0_inv
	v_cmpx_gt_u32_e32 2, v0
	s_cbranch_execz .LBB4_14
; %bb.13:
	ds_read_b128 v[2:5], v1
	ds_read_b128 v[6:9], v1 offset:32
	s_waitcnt lgkmcnt(0)
	v_add_f64 v[2:3], v[6:7], v[2:3]
	v_add_f64 v[4:5], v[8:9], v[4:5]
	ds_write_b128 v1, v[2:5]
.LBB4_14:
	s_or_b32 exec_lo, exec_lo, s4
	v_cmp_eq_u32_e32 vcc_lo, 0, v0
	s_waitcnt lgkmcnt(0)
	s_barrier
	buffer_gl0_inv
	s_and_saveexec_b32 s4, vcc_lo
	s_cbranch_execz .LBB4_16
; %bb.15:
	v_mov_b32_e32 v8, 0
	ds_read_b128 v[0:3], v8
	ds_read_b128 v[4:7], v8 offset:16
	s_waitcnt lgkmcnt(0)
	v_add_f64 v[0:1], v[4:5], v[0:1]
	v_add_f64 v[2:3], v[6:7], v[2:3]
	ds_write_b128 v8, v[0:3]
.LBB4_16:
	s_or_b32 exec_lo, exec_lo, s4
	s_waitcnt lgkmcnt(0)
	s_barrier
	buffer_gl0_inv
	s_and_saveexec_b32 s4, vcc_lo
	s_cbranch_execz .LBB4_18
; %bb.17:
	v_mov_b32_e32 v4, 0
	s_cmp_eq_u64 s[2:3], 0
	s_cselect_b32 s1, s1, s3
	s_cselect_b32 s0, s0, s2
	ds_read_b128 v[0:3], v4
	s_waitcnt lgkmcnt(0)
	global_store_dwordx4 v4, v[0:3], s[0:1]
.LBB4_18:
	s_endpgm
	.section	.rodata,"a",@progbits
	.p2align	6, 0x0
	.amdhsa_kernel _ZN9rocsparseL18dotci_kernel_part2ILj256E21rocsparse_complex_numIdEEEvPT0_S4_
		.amdhsa_group_segment_fixed_size 4096
		.amdhsa_private_segment_fixed_size 0
		.amdhsa_kernarg_size 16
		.amdhsa_user_sgpr_count 6
		.amdhsa_user_sgpr_private_segment_buffer 1
		.amdhsa_user_sgpr_dispatch_ptr 0
		.amdhsa_user_sgpr_queue_ptr 0
		.amdhsa_user_sgpr_kernarg_segment_ptr 1
		.amdhsa_user_sgpr_dispatch_id 0
		.amdhsa_user_sgpr_flat_scratch_init 0
		.amdhsa_user_sgpr_private_segment_size 0
		.amdhsa_wavefront_size32 1
		.amdhsa_uses_dynamic_stack 0
		.amdhsa_system_sgpr_private_segment_wavefront_offset 0
		.amdhsa_system_sgpr_workgroup_id_x 1
		.amdhsa_system_sgpr_workgroup_id_y 0
		.amdhsa_system_sgpr_workgroup_id_z 0
		.amdhsa_system_sgpr_workgroup_info 0
		.amdhsa_system_vgpr_workitem_id 0
		.amdhsa_next_free_vgpr 10
		.amdhsa_next_free_sgpr 6
		.amdhsa_reserve_vcc 1
		.amdhsa_reserve_flat_scratch 0
		.amdhsa_float_round_mode_32 0
		.amdhsa_float_round_mode_16_64 0
		.amdhsa_float_denorm_mode_32 3
		.amdhsa_float_denorm_mode_16_64 3
		.amdhsa_dx10_clamp 1
		.amdhsa_ieee_mode 1
		.amdhsa_fp16_overflow 0
		.amdhsa_workgroup_processor_mode 1
		.amdhsa_memory_ordered 1
		.amdhsa_forward_progress 1
		.amdhsa_shared_vgpr_count 0
		.amdhsa_exception_fp_ieee_invalid_op 0
		.amdhsa_exception_fp_denorm_src 0
		.amdhsa_exception_fp_ieee_div_zero 0
		.amdhsa_exception_fp_ieee_overflow 0
		.amdhsa_exception_fp_ieee_underflow 0
		.amdhsa_exception_fp_ieee_inexact 0
		.amdhsa_exception_int_div_zero 0
	.end_amdhsa_kernel
	.section	.text._ZN9rocsparseL18dotci_kernel_part2ILj256E21rocsparse_complex_numIdEEEvPT0_S4_,"axG",@progbits,_ZN9rocsparseL18dotci_kernel_part2ILj256E21rocsparse_complex_numIdEEEvPT0_S4_,comdat
.Lfunc_end4:
	.size	_ZN9rocsparseL18dotci_kernel_part2ILj256E21rocsparse_complex_numIdEEEvPT0_S4_, .Lfunc_end4-_ZN9rocsparseL18dotci_kernel_part2ILj256E21rocsparse_complex_numIdEEEvPT0_S4_
                                        ; -- End function
	.set _ZN9rocsparseL18dotci_kernel_part2ILj256E21rocsparse_complex_numIdEEEvPT0_S4_.num_vgpr, 10
	.set _ZN9rocsparseL18dotci_kernel_part2ILj256E21rocsparse_complex_numIdEEEvPT0_S4_.num_agpr, 0
	.set _ZN9rocsparseL18dotci_kernel_part2ILj256E21rocsparse_complex_numIdEEEvPT0_S4_.numbered_sgpr, 6
	.set _ZN9rocsparseL18dotci_kernel_part2ILj256E21rocsparse_complex_numIdEEEvPT0_S4_.num_named_barrier, 0
	.set _ZN9rocsparseL18dotci_kernel_part2ILj256E21rocsparse_complex_numIdEEEvPT0_S4_.private_seg_size, 0
	.set _ZN9rocsparseL18dotci_kernel_part2ILj256E21rocsparse_complex_numIdEEEvPT0_S4_.uses_vcc, 1
	.set _ZN9rocsparseL18dotci_kernel_part2ILj256E21rocsparse_complex_numIdEEEvPT0_S4_.uses_flat_scratch, 0
	.set _ZN9rocsparseL18dotci_kernel_part2ILj256E21rocsparse_complex_numIdEEEvPT0_S4_.has_dyn_sized_stack, 0
	.set _ZN9rocsparseL18dotci_kernel_part2ILj256E21rocsparse_complex_numIdEEEvPT0_S4_.has_recursion, 0
	.set _ZN9rocsparseL18dotci_kernel_part2ILj256E21rocsparse_complex_numIdEEEvPT0_S4_.has_indirect_call, 0
	.section	.AMDGPU.csdata,"",@progbits
; Kernel info:
; codeLenInByte = 716
; TotalNumSgprs: 8
; NumVgprs: 10
; ScratchSize: 0
; MemoryBound: 0
; FloatMode: 240
; IeeeMode: 1
; LDSByteSize: 4096 bytes/workgroup (compile time only)
; SGPRBlocks: 0
; VGPRBlocks: 1
; NumSGPRsForWavesPerEU: 8
; NumVGPRsForWavesPerEU: 10
; Occupancy: 16
; WaveLimiterHint : 0
; COMPUTE_PGM_RSRC2:SCRATCH_EN: 0
; COMPUTE_PGM_RSRC2:USER_SGPR: 6
; COMPUTE_PGM_RSRC2:TRAP_HANDLER: 0
; COMPUTE_PGM_RSRC2:TGID_X_EN: 1
; COMPUTE_PGM_RSRC2:TGID_Y_EN: 0
; COMPUTE_PGM_RSRC2:TGID_Z_EN: 0
; COMPUTE_PGM_RSRC2:TIDIG_COMP_CNT: 0
	.section	.text._ZN9rocsparseL18dotci_kernel_part1ILj256El21rocsparse_complex_numIdES2_S2_EEvT0_PKT1_PKS3_PKT2_PT3_21rocsparse_index_base_,"axG",@progbits,_ZN9rocsparseL18dotci_kernel_part1ILj256El21rocsparse_complex_numIdES2_S2_EEvT0_PKT1_PKS3_PKT2_PT3_21rocsparse_index_base_,comdat
	.globl	_ZN9rocsparseL18dotci_kernel_part1ILj256El21rocsparse_complex_numIdES2_S2_EEvT0_PKT1_PKS3_PKT2_PT3_21rocsparse_index_base_ ; -- Begin function _ZN9rocsparseL18dotci_kernel_part1ILj256El21rocsparse_complex_numIdES2_S2_EEvT0_PKT1_PKS3_PKT2_PT3_21rocsparse_index_base_
	.p2align	8
	.type	_ZN9rocsparseL18dotci_kernel_part1ILj256El21rocsparse_complex_numIdES2_S2_EEvT0_PKT1_PKS3_PKT2_PT3_21rocsparse_index_base_,@function
_ZN9rocsparseL18dotci_kernel_part1ILj256El21rocsparse_complex_numIdES2_S2_EEvT0_PKT1_PKS3_PKT2_PT3_21rocsparse_index_base_: ; @_ZN9rocsparseL18dotci_kernel_part1ILj256El21rocsparse_complex_numIdES2_S2_EEvT0_PKT1_PKS3_PKT2_PT3_21rocsparse_index_base_
; %bb.0:
	s_clause 0x1
	s_load_dwordx8 s[8:15], s[4:5], 0x0
	s_load_dwordx2 s[2:3], s[4:5], 0x20
	v_mov_b32_e32 v1, 0
	v_mov_b32_e32 v2, 0
	v_lshl_or_b32 v5, s6, 8, v0
	v_mov_b32_e32 v6, 0
	s_mov_b32 s1, exec_lo
	v_mov_b32_e32 v4, v2
	v_mov_b32_e32 v3, v1
	s_waitcnt lgkmcnt(0)
	v_cmpx_gt_i64_e64 s[8:9], v[5:6]
	s_cbranch_execz .LBB5_4
; %bb.1:
	s_clause 0x1
	s_load_dword s0, s[4:5], 0x30
	s_load_dword s7, s[4:5], 0x28
	v_lshlrev_b64 v[3:4], 4, v[5:6]
	v_lshlrev_b64 v[7:8], 3, v[5:6]
	v_mov_b32_e32 v1, 0
	v_mov_b32_e32 v2, 0
	s_mov_b32 s5, 0
	v_add_co_u32 v9, vcc_lo, s10, v3
	v_add_co_ci_u32_e64 v10, null, s11, v4, vcc_lo
	v_add_co_u32 v7, vcc_lo, s12, v7
	v_add_co_ci_u32_e64 v8, null, s13, v8, vcc_lo
	v_add_co_u32 v9, vcc_lo, v9, 8
	v_mov_b32_e32 v4, v2
	v_mov_b32_e32 v3, v1
	v_add_co_ci_u32_e64 v10, null, 0, v10, vcc_lo
	s_waitcnt lgkmcnt(0)
	s_lshl_b32 s4, s0, 8
	s_lshl_b64 s[10:11], s[4:5], 4
	s_lshl_b64 s[12:13], s[4:5], 3
	s_inst_prefetch 0x1
	.p2align	6
.LBB5_2:                                ; =>This Inner Loop Header: Depth=1
	global_load_dwordx2 v[11:12], v[7:8], off
	v_add_co_u32 v7, s0, v7, s12
	v_add_co_ci_u32_e64 v8, null, s13, v8, s0
	s_waitcnt vmcnt(0)
	v_sub_co_u32 v11, vcc_lo, v11, s7
	v_subrev_co_ci_u32_e64 v12, null, 0, v12, vcc_lo
	v_lshlrev_b64 v[11:12], 4, v[11:12]
	v_add_co_u32 v15, vcc_lo, s14, v11
	v_add_co_ci_u32_e64 v16, null, s15, v12, vcc_lo
	v_add_co_u32 v5, vcc_lo, v5, s4
	global_load_dwordx4 v[11:14], v[9:10], off offset:-8
	global_load_dwordx4 v[15:18], v[15:16], off
	v_add_co_ci_u32_e64 v6, null, 0, v6, vcc_lo
	v_add_co_u32 v9, vcc_lo, v9, s10
	v_add_co_ci_u32_e64 v10, null, s11, v10, vcc_lo
	v_cmp_le_i64_e32 vcc_lo, s[8:9], v[5:6]
	s_or_b32 s5, vcc_lo, s5
	s_waitcnt vmcnt(0)
	v_fma_f64 v[1:2], v[15:16], v[11:12], v[1:2]
	v_fma_f64 v[3:4], v[17:18], v[11:12], v[3:4]
	;; [unrolled: 1-line block ×3, first 2 shown]
	v_fma_f64 v[3:4], v[15:16], -v[13:14], v[3:4]
	s_andn2_b32 exec_lo, exec_lo, s5
	s_cbranch_execnz .LBB5_2
; %bb.3:
	s_inst_prefetch 0x2
	s_or_b32 exec_lo, exec_lo, s5
.LBB5_4:
	s_or_b32 exec_lo, exec_lo, s1
	v_lshlrev_b32_e32 v5, 4, v0
	s_mov_b32 s0, exec_lo
	ds_write_b128 v5, v[1:4]
	s_waitcnt lgkmcnt(0)
	s_barrier
	buffer_gl0_inv
	v_cmpx_gt_u32_e32 0x80, v0
	s_cbranch_execz .LBB5_6
; %bb.5:
	ds_read_b128 v[1:4], v5 offset:2048
	ds_read_b128 v[6:9], v5
	s_waitcnt lgkmcnt(0)
	v_add_f64 v[1:2], v[1:2], v[6:7]
	v_add_f64 v[3:4], v[3:4], v[8:9]
	ds_write_b128 v5, v[1:4]
.LBB5_6:
	s_or_b32 exec_lo, exec_lo, s0
	s_mov_b32 s0, exec_lo
	s_waitcnt lgkmcnt(0)
	s_barrier
	buffer_gl0_inv
	v_cmpx_gt_u32_e32 64, v0
	s_cbranch_execz .LBB5_8
; %bb.7:
	ds_read_b128 v[1:4], v5 offset:1024
	ds_read_b128 v[6:9], v5
	s_waitcnt lgkmcnt(0)
	v_add_f64 v[1:2], v[1:2], v[6:7]
	v_add_f64 v[3:4], v[3:4], v[8:9]
	ds_write_b128 v5, v[1:4]
.LBB5_8:
	s_or_b32 exec_lo, exec_lo, s0
	s_mov_b32 s0, exec_lo
	s_waitcnt lgkmcnt(0)
	s_barrier
	buffer_gl0_inv
	v_cmpx_gt_u32_e32 32, v0
	s_cbranch_execz .LBB5_10
; %bb.9:
	ds_read_b128 v[1:4], v5 offset:512
	ds_read_b128 v[6:9], v5
	s_waitcnt lgkmcnt(0)
	v_add_f64 v[1:2], v[1:2], v[6:7]
	v_add_f64 v[3:4], v[3:4], v[8:9]
	ds_write_b128 v5, v[1:4]
.LBB5_10:
	s_or_b32 exec_lo, exec_lo, s0
	s_mov_b32 s0, exec_lo
	s_waitcnt lgkmcnt(0)
	s_barrier
	buffer_gl0_inv
	v_cmpx_gt_u32_e32 16, v0
	s_cbranch_execz .LBB5_12
; %bb.11:
	ds_read_b128 v[1:4], v5 offset:256
	ds_read_b128 v[6:9], v5
	s_waitcnt lgkmcnt(0)
	v_add_f64 v[1:2], v[1:2], v[6:7]
	v_add_f64 v[3:4], v[3:4], v[8:9]
	ds_write_b128 v5, v[1:4]
.LBB5_12:
	s_or_b32 exec_lo, exec_lo, s0
	s_mov_b32 s0, exec_lo
	s_waitcnt lgkmcnt(0)
	s_barrier
	buffer_gl0_inv
	v_cmpx_gt_u32_e32 8, v0
	s_cbranch_execz .LBB5_14
; %bb.13:
	ds_read_b128 v[1:4], v5 offset:128
	ds_read_b128 v[6:9], v5
	s_waitcnt lgkmcnt(0)
	v_add_f64 v[1:2], v[1:2], v[6:7]
	v_add_f64 v[3:4], v[3:4], v[8:9]
	ds_write_b128 v5, v[1:4]
.LBB5_14:
	s_or_b32 exec_lo, exec_lo, s0
	s_mov_b32 s0, exec_lo
	s_waitcnt lgkmcnt(0)
	s_barrier
	buffer_gl0_inv
	v_cmpx_gt_u32_e32 4, v0
	s_cbranch_execz .LBB5_16
; %bb.15:
	ds_read_b128 v[1:4], v5 offset:64
	ds_read_b128 v[6:9], v5
	s_waitcnt lgkmcnt(0)
	v_add_f64 v[1:2], v[1:2], v[6:7]
	v_add_f64 v[3:4], v[3:4], v[8:9]
	ds_write_b128 v5, v[1:4]
.LBB5_16:
	s_or_b32 exec_lo, exec_lo, s0
	s_mov_b32 s0, exec_lo
	s_waitcnt lgkmcnt(0)
	s_barrier
	buffer_gl0_inv
	v_cmpx_gt_u32_e32 2, v0
	s_cbranch_execz .LBB5_18
; %bb.17:
	ds_read_b128 v[1:4], v5
	ds_read_b128 v[6:9], v5 offset:32
	s_waitcnt lgkmcnt(0)
	v_add_f64 v[1:2], v[6:7], v[1:2]
	v_add_f64 v[3:4], v[8:9], v[3:4]
	ds_write_b128 v5, v[1:4]
.LBB5_18:
	s_or_b32 exec_lo, exec_lo, s0
	v_cmp_eq_u32_e32 vcc_lo, 0, v0
	s_waitcnt lgkmcnt(0)
	s_barrier
	buffer_gl0_inv
	s_and_saveexec_b32 s0, vcc_lo
	s_cbranch_execz .LBB5_20
; %bb.19:
	v_mov_b32_e32 v8, 0
	ds_read_b128 v[0:3], v8
	ds_read_b128 v[4:7], v8 offset:16
	s_waitcnt lgkmcnt(0)
	v_add_f64 v[0:1], v[4:5], v[0:1]
	v_add_f64 v[2:3], v[6:7], v[2:3]
	ds_write_b128 v8, v[0:3]
.LBB5_20:
	s_or_b32 exec_lo, exec_lo, s0
	s_waitcnt lgkmcnt(0)
	s_barrier
	buffer_gl0_inv
	s_and_saveexec_b32 s0, vcc_lo
	s_cbranch_execz .LBB5_22
; %bb.21:
	v_mov_b32_e32 v4, 0
	s_mov_b32 s7, 0
	s_lshl_b64 s[0:1], s[6:7], 4
	s_add_u32 s0, s2, s0
	ds_read_b128 v[0:3], v4
	s_addc_u32 s1, s3, s1
	s_waitcnt lgkmcnt(0)
	global_store_dwordx4 v4, v[0:3], s[0:1]
.LBB5_22:
	s_endpgm
	.section	.rodata,"a",@progbits
	.p2align	6, 0x0
	.amdhsa_kernel _ZN9rocsparseL18dotci_kernel_part1ILj256El21rocsparse_complex_numIdES2_S2_EEvT0_PKT1_PKS3_PKT2_PT3_21rocsparse_index_base_
		.amdhsa_group_segment_fixed_size 4096
		.amdhsa_private_segment_fixed_size 0
		.amdhsa_kernarg_size 304
		.amdhsa_user_sgpr_count 6
		.amdhsa_user_sgpr_private_segment_buffer 1
		.amdhsa_user_sgpr_dispatch_ptr 0
		.amdhsa_user_sgpr_queue_ptr 0
		.amdhsa_user_sgpr_kernarg_segment_ptr 1
		.amdhsa_user_sgpr_dispatch_id 0
		.amdhsa_user_sgpr_flat_scratch_init 0
		.amdhsa_user_sgpr_private_segment_size 0
		.amdhsa_wavefront_size32 1
		.amdhsa_uses_dynamic_stack 0
		.amdhsa_system_sgpr_private_segment_wavefront_offset 0
		.amdhsa_system_sgpr_workgroup_id_x 1
		.amdhsa_system_sgpr_workgroup_id_y 0
		.amdhsa_system_sgpr_workgroup_id_z 0
		.amdhsa_system_sgpr_workgroup_info 0
		.amdhsa_system_vgpr_workitem_id 0
		.amdhsa_next_free_vgpr 19
		.amdhsa_next_free_sgpr 16
		.amdhsa_reserve_vcc 1
		.amdhsa_reserve_flat_scratch 0
		.amdhsa_float_round_mode_32 0
		.amdhsa_float_round_mode_16_64 0
		.amdhsa_float_denorm_mode_32 3
		.amdhsa_float_denorm_mode_16_64 3
		.amdhsa_dx10_clamp 1
		.amdhsa_ieee_mode 1
		.amdhsa_fp16_overflow 0
		.amdhsa_workgroup_processor_mode 1
		.amdhsa_memory_ordered 1
		.amdhsa_forward_progress 1
		.amdhsa_shared_vgpr_count 0
		.amdhsa_exception_fp_ieee_invalid_op 0
		.amdhsa_exception_fp_denorm_src 0
		.amdhsa_exception_fp_ieee_div_zero 0
		.amdhsa_exception_fp_ieee_overflow 0
		.amdhsa_exception_fp_ieee_underflow 0
		.amdhsa_exception_fp_ieee_inexact 0
		.amdhsa_exception_int_div_zero 0
	.end_amdhsa_kernel
	.section	.text._ZN9rocsparseL18dotci_kernel_part1ILj256El21rocsparse_complex_numIdES2_S2_EEvT0_PKT1_PKS3_PKT2_PT3_21rocsparse_index_base_,"axG",@progbits,_ZN9rocsparseL18dotci_kernel_part1ILj256El21rocsparse_complex_numIdES2_S2_EEvT0_PKT1_PKS3_PKT2_PT3_21rocsparse_index_base_,comdat
.Lfunc_end5:
	.size	_ZN9rocsparseL18dotci_kernel_part1ILj256El21rocsparse_complex_numIdES2_S2_EEvT0_PKT1_PKS3_PKT2_PT3_21rocsparse_index_base_, .Lfunc_end5-_ZN9rocsparseL18dotci_kernel_part1ILj256El21rocsparse_complex_numIdES2_S2_EEvT0_PKT1_PKS3_PKT2_PT3_21rocsparse_index_base_
                                        ; -- End function
	.set _ZN9rocsparseL18dotci_kernel_part1ILj256El21rocsparse_complex_numIdES2_S2_EEvT0_PKT1_PKS3_PKT2_PT3_21rocsparse_index_base_.num_vgpr, 19
	.set _ZN9rocsparseL18dotci_kernel_part1ILj256El21rocsparse_complex_numIdES2_S2_EEvT0_PKT1_PKS3_PKT2_PT3_21rocsparse_index_base_.num_agpr, 0
	.set _ZN9rocsparseL18dotci_kernel_part1ILj256El21rocsparse_complex_numIdES2_S2_EEvT0_PKT1_PKS3_PKT2_PT3_21rocsparse_index_base_.numbered_sgpr, 16
	.set _ZN9rocsparseL18dotci_kernel_part1ILj256El21rocsparse_complex_numIdES2_S2_EEvT0_PKT1_PKS3_PKT2_PT3_21rocsparse_index_base_.num_named_barrier, 0
	.set _ZN9rocsparseL18dotci_kernel_part1ILj256El21rocsparse_complex_numIdES2_S2_EEvT0_PKT1_PKS3_PKT2_PT3_21rocsparse_index_base_.private_seg_size, 0
	.set _ZN9rocsparseL18dotci_kernel_part1ILj256El21rocsparse_complex_numIdES2_S2_EEvT0_PKT1_PKS3_PKT2_PT3_21rocsparse_index_base_.uses_vcc, 1
	.set _ZN9rocsparseL18dotci_kernel_part1ILj256El21rocsparse_complex_numIdES2_S2_EEvT0_PKT1_PKS3_PKT2_PT3_21rocsparse_index_base_.uses_flat_scratch, 0
	.set _ZN9rocsparseL18dotci_kernel_part1ILj256El21rocsparse_complex_numIdES2_S2_EEvT0_PKT1_PKS3_PKT2_PT3_21rocsparse_index_base_.has_dyn_sized_stack, 0
	.set _ZN9rocsparseL18dotci_kernel_part1ILj256El21rocsparse_complex_numIdES2_S2_EEvT0_PKT1_PKS3_PKT2_PT3_21rocsparse_index_base_.has_recursion, 0
	.set _ZN9rocsparseL18dotci_kernel_part1ILj256El21rocsparse_complex_numIdES2_S2_EEvT0_PKT1_PKS3_PKT2_PT3_21rocsparse_index_base_.has_indirect_call, 0
	.section	.AMDGPU.csdata,"",@progbits
; Kernel info:
; codeLenInByte = 1068
; TotalNumSgprs: 18
; NumVgprs: 19
; ScratchSize: 0
; MemoryBound: 0
; FloatMode: 240
; IeeeMode: 1
; LDSByteSize: 4096 bytes/workgroup (compile time only)
; SGPRBlocks: 0
; VGPRBlocks: 2
; NumSGPRsForWavesPerEU: 18
; NumVGPRsForWavesPerEU: 19
; Occupancy: 16
; WaveLimiterHint : 1
; COMPUTE_PGM_RSRC2:SCRATCH_EN: 0
; COMPUTE_PGM_RSRC2:USER_SGPR: 6
; COMPUTE_PGM_RSRC2:TRAP_HANDLER: 0
; COMPUTE_PGM_RSRC2:TGID_X_EN: 1
; COMPUTE_PGM_RSRC2:TGID_Y_EN: 0
; COMPUTE_PGM_RSRC2:TGID_Z_EN: 0
; COMPUTE_PGM_RSRC2:TIDIG_COMP_CNT: 0
	.section	.AMDGPU.gpr_maximums,"",@progbits
	.set amdgpu.max_num_vgpr, 0
	.set amdgpu.max_num_agpr, 0
	.set amdgpu.max_num_sgpr, 0
	.section	.AMDGPU.csdata,"",@progbits
	.type	__hip_cuid_67ad8d9bf8000eb7,@object ; @__hip_cuid_67ad8d9bf8000eb7
	.section	.bss,"aw",@nobits
	.globl	__hip_cuid_67ad8d9bf8000eb7
__hip_cuid_67ad8d9bf8000eb7:
	.byte	0                               ; 0x0
	.size	__hip_cuid_67ad8d9bf8000eb7, 1

	.ident	"AMD clang version 22.0.0git (https://github.com/RadeonOpenCompute/llvm-project roc-7.2.4 26084 f58b06dce1f9c15707c5f808fd002e18c2accf7e)"
	.section	".note.GNU-stack","",@progbits
	.addrsig
	.addrsig_sym __hip_cuid_67ad8d9bf8000eb7
	.amdgpu_metadata
---
amdhsa.kernels:
  - .args:
      - .offset:         0
        .size:           4
        .value_kind:     by_value
      - .address_space:  global
        .offset:         8
        .size:           8
        .value_kind:     global_buffer
      - .address_space:  global
        .offset:         16
        .size:           8
        .value_kind:     global_buffer
      - .address_space:  global
        .offset:         24
        .size:           8
        .value_kind:     global_buffer
      - .address_space:  global
        .offset:         32
        .size:           8
        .value_kind:     global_buffer
      - .offset:         40
        .size:           4
        .value_kind:     by_value
      - .offset:         48
        .size:           4
        .value_kind:     hidden_block_count_x
      - .offset:         52
        .size:           4
        .value_kind:     hidden_block_count_y
      - .offset:         56
        .size:           4
        .value_kind:     hidden_block_count_z
      - .offset:         60
        .size:           2
        .value_kind:     hidden_group_size_x
      - .offset:         62
        .size:           2
        .value_kind:     hidden_group_size_y
      - .offset:         64
        .size:           2
        .value_kind:     hidden_group_size_z
      - .offset:         66
        .size:           2
        .value_kind:     hidden_remainder_x
      - .offset:         68
        .size:           2
        .value_kind:     hidden_remainder_y
      - .offset:         70
        .size:           2
        .value_kind:     hidden_remainder_z
      - .offset:         88
        .size:           8
        .value_kind:     hidden_global_offset_x
      - .offset:         96
        .size:           8
        .value_kind:     hidden_global_offset_y
      - .offset:         104
        .size:           8
        .value_kind:     hidden_global_offset_z
      - .offset:         112
        .size:           2
        .value_kind:     hidden_grid_dims
    .group_segment_fixed_size: 2048
    .kernarg_segment_align: 8
    .kernarg_segment_size: 304
    .language:       OpenCL C
    .language_version:
      - 2
      - 0
    .max_flat_workgroup_size: 256
    .name:           _ZN9rocsparseL18dotci_kernel_part1ILj256Ei21rocsparse_complex_numIfES2_S2_EEvT0_PKT1_PKS3_PKT2_PT3_21rocsparse_index_base_
    .private_segment_fixed_size: 0
    .sgpr_count:     18
    .sgpr_spill_count: 0
    .symbol:         _ZN9rocsparseL18dotci_kernel_part1ILj256Ei21rocsparse_complex_numIfES2_S2_EEvT0_PKT1_PKS3_PKT2_PT3_21rocsparse_index_base_.kd
    .uniform_work_group_size: 1
    .uses_dynamic_stack: false
    .vgpr_count:     9
    .vgpr_spill_count: 0
    .wavefront_size: 32
    .workgroup_processor_mode: 1
  - .args:
      - .address_space:  global
        .offset:         0
        .size:           8
        .value_kind:     global_buffer
      - .address_space:  global
        .offset:         8
        .size:           8
        .value_kind:     global_buffer
    .group_segment_fixed_size: 2048
    .kernarg_segment_align: 8
    .kernarg_segment_size: 16
    .language:       OpenCL C
    .language_version:
      - 2
      - 0
    .max_flat_workgroup_size: 256
    .name:           _ZN9rocsparseL18dotci_kernel_part2ILj256E21rocsparse_complex_numIfEEEvPT0_S4_
    .private_segment_fixed_size: 0
    .sgpr_count:     8
    .sgpr_spill_count: 0
    .symbol:         _ZN9rocsparseL18dotci_kernel_part2ILj256E21rocsparse_complex_numIfEEEvPT0_S4_.kd
    .uniform_work_group_size: 1
    .uses_dynamic_stack: false
    .vgpr_count:     6
    .vgpr_spill_count: 0
    .wavefront_size: 32
    .workgroup_processor_mode: 1
  - .args:
      - .offset:         0
        .size:           8
        .value_kind:     by_value
      - .address_space:  global
        .offset:         8
        .size:           8
        .value_kind:     global_buffer
      - .address_space:  global
        .offset:         16
        .size:           8
        .value_kind:     global_buffer
      - .address_space:  global
        .offset:         24
        .size:           8
        .value_kind:     global_buffer
      - .address_space:  global
        .offset:         32
        .size:           8
        .value_kind:     global_buffer
      - .offset:         40
        .size:           4
        .value_kind:     by_value
      - .offset:         48
        .size:           4
        .value_kind:     hidden_block_count_x
      - .offset:         52
        .size:           4
        .value_kind:     hidden_block_count_y
      - .offset:         56
        .size:           4
        .value_kind:     hidden_block_count_z
      - .offset:         60
        .size:           2
        .value_kind:     hidden_group_size_x
      - .offset:         62
        .size:           2
        .value_kind:     hidden_group_size_y
      - .offset:         64
        .size:           2
        .value_kind:     hidden_group_size_z
      - .offset:         66
        .size:           2
        .value_kind:     hidden_remainder_x
      - .offset:         68
        .size:           2
        .value_kind:     hidden_remainder_y
      - .offset:         70
        .size:           2
        .value_kind:     hidden_remainder_z
      - .offset:         88
        .size:           8
        .value_kind:     hidden_global_offset_x
      - .offset:         96
        .size:           8
        .value_kind:     hidden_global_offset_y
      - .offset:         104
        .size:           8
        .value_kind:     hidden_global_offset_z
      - .offset:         112
        .size:           2
        .value_kind:     hidden_grid_dims
    .group_segment_fixed_size: 2048
    .kernarg_segment_align: 8
    .kernarg_segment_size: 304
    .language:       OpenCL C
    .language_version:
      - 2
      - 0
    .max_flat_workgroup_size: 256
    .name:           _ZN9rocsparseL18dotci_kernel_part1ILj256El21rocsparse_complex_numIfES2_S2_EEvT0_PKT1_PKS3_PKT2_PT3_21rocsparse_index_base_
    .private_segment_fixed_size: 0
    .sgpr_count:     20
    .sgpr_spill_count: 0
    .symbol:         _ZN9rocsparseL18dotci_kernel_part1ILj256El21rocsparse_complex_numIfES2_S2_EEvT0_PKT1_PKS3_PKT2_PT3_21rocsparse_index_base_.kd
    .uniform_work_group_size: 1
    .uses_dynamic_stack: false
    .vgpr_count:     11
    .vgpr_spill_count: 0
    .wavefront_size: 32
    .workgroup_processor_mode: 1
  - .args:
      - .offset:         0
        .size:           4
        .value_kind:     by_value
      - .address_space:  global
        .offset:         8
        .size:           8
        .value_kind:     global_buffer
      - .address_space:  global
        .offset:         16
        .size:           8
        .value_kind:     global_buffer
      - .address_space:  global
        .offset:         24
        .size:           8
        .value_kind:     global_buffer
      - .address_space:  global
        .offset:         32
        .size:           8
        .value_kind:     global_buffer
      - .offset:         40
        .size:           4
        .value_kind:     by_value
      - .offset:         48
        .size:           4
        .value_kind:     hidden_block_count_x
      - .offset:         52
        .size:           4
        .value_kind:     hidden_block_count_y
      - .offset:         56
        .size:           4
        .value_kind:     hidden_block_count_z
      - .offset:         60
        .size:           2
        .value_kind:     hidden_group_size_x
      - .offset:         62
        .size:           2
        .value_kind:     hidden_group_size_y
      - .offset:         64
        .size:           2
        .value_kind:     hidden_group_size_z
      - .offset:         66
        .size:           2
        .value_kind:     hidden_remainder_x
      - .offset:         68
        .size:           2
        .value_kind:     hidden_remainder_y
      - .offset:         70
        .size:           2
        .value_kind:     hidden_remainder_z
      - .offset:         88
        .size:           8
        .value_kind:     hidden_global_offset_x
      - .offset:         96
        .size:           8
        .value_kind:     hidden_global_offset_y
      - .offset:         104
        .size:           8
        .value_kind:     hidden_global_offset_z
      - .offset:         112
        .size:           2
        .value_kind:     hidden_grid_dims
    .group_segment_fixed_size: 4096
    .kernarg_segment_align: 8
    .kernarg_segment_size: 304
    .language:       OpenCL C
    .language_version:
      - 2
      - 0
    .max_flat_workgroup_size: 256
    .name:           _ZN9rocsparseL18dotci_kernel_part1ILj256Ei21rocsparse_complex_numIdES2_S2_EEvT0_PKT1_PKS3_PKT2_PT3_21rocsparse_index_base_
    .private_segment_fixed_size: 0
    .sgpr_count:     18
    .sgpr_spill_count: 0
    .symbol:         _ZN9rocsparseL18dotci_kernel_part1ILj256Ei21rocsparse_complex_numIdES2_S2_EEvT0_PKT1_PKS3_PKT2_PT3_21rocsparse_index_base_.kd
    .uniform_work_group_size: 1
    .uses_dynamic_stack: false
    .vgpr_count:     14
    .vgpr_spill_count: 0
    .wavefront_size: 32
    .workgroup_processor_mode: 1
  - .args:
      - .address_space:  global
        .offset:         0
        .size:           8
        .value_kind:     global_buffer
      - .address_space:  global
        .offset:         8
        .size:           8
        .value_kind:     global_buffer
    .group_segment_fixed_size: 4096
    .kernarg_segment_align: 8
    .kernarg_segment_size: 16
    .language:       OpenCL C
    .language_version:
      - 2
      - 0
    .max_flat_workgroup_size: 256
    .name:           _ZN9rocsparseL18dotci_kernel_part2ILj256E21rocsparse_complex_numIdEEEvPT0_S4_
    .private_segment_fixed_size: 0
    .sgpr_count:     8
    .sgpr_spill_count: 0
    .symbol:         _ZN9rocsparseL18dotci_kernel_part2ILj256E21rocsparse_complex_numIdEEEvPT0_S4_.kd
    .uniform_work_group_size: 1
    .uses_dynamic_stack: false
    .vgpr_count:     10
    .vgpr_spill_count: 0
    .wavefront_size: 32
    .workgroup_processor_mode: 1
  - .args:
      - .offset:         0
        .size:           8
        .value_kind:     by_value
      - .address_space:  global
        .offset:         8
        .size:           8
        .value_kind:     global_buffer
      - .address_space:  global
        .offset:         16
        .size:           8
        .value_kind:     global_buffer
      - .address_space:  global
        .offset:         24
        .size:           8
        .value_kind:     global_buffer
      - .address_space:  global
        .offset:         32
        .size:           8
        .value_kind:     global_buffer
      - .offset:         40
        .size:           4
        .value_kind:     by_value
      - .offset:         48
        .size:           4
        .value_kind:     hidden_block_count_x
      - .offset:         52
        .size:           4
        .value_kind:     hidden_block_count_y
      - .offset:         56
        .size:           4
        .value_kind:     hidden_block_count_z
      - .offset:         60
        .size:           2
        .value_kind:     hidden_group_size_x
      - .offset:         62
        .size:           2
        .value_kind:     hidden_group_size_y
      - .offset:         64
        .size:           2
        .value_kind:     hidden_group_size_z
      - .offset:         66
        .size:           2
        .value_kind:     hidden_remainder_x
      - .offset:         68
        .size:           2
        .value_kind:     hidden_remainder_y
      - .offset:         70
        .size:           2
        .value_kind:     hidden_remainder_z
      - .offset:         88
        .size:           8
        .value_kind:     hidden_global_offset_x
      - .offset:         96
        .size:           8
        .value_kind:     hidden_global_offset_y
      - .offset:         104
        .size:           8
        .value_kind:     hidden_global_offset_z
      - .offset:         112
        .size:           2
        .value_kind:     hidden_grid_dims
    .group_segment_fixed_size: 4096
    .kernarg_segment_align: 8
    .kernarg_segment_size: 304
    .language:       OpenCL C
    .language_version:
      - 2
      - 0
    .max_flat_workgroup_size: 256
    .name:           _ZN9rocsparseL18dotci_kernel_part1ILj256El21rocsparse_complex_numIdES2_S2_EEvT0_PKT1_PKS3_PKT2_PT3_21rocsparse_index_base_
    .private_segment_fixed_size: 0
    .sgpr_count:     18
    .sgpr_spill_count: 0
    .symbol:         _ZN9rocsparseL18dotci_kernel_part1ILj256El21rocsparse_complex_numIdES2_S2_EEvT0_PKT1_PKS3_PKT2_PT3_21rocsparse_index_base_.kd
    .uniform_work_group_size: 1
    .uses_dynamic_stack: false
    .vgpr_count:     19
    .vgpr_spill_count: 0
    .wavefront_size: 32
    .workgroup_processor_mode: 1
amdhsa.target:   amdgcn-amd-amdhsa--gfx1030
amdhsa.version:
  - 1
  - 2
...

	.end_amdgpu_metadata
